;; amdgpu-corpus repo=ROCm/Tensile kind=harvested arch=n/a opt=n/a

/******************************************/
/* Function Prefix                        */
/******************************************/



/******************************************/
/* Begin Kernel                           */
/******************************************/

// Component.Signature.SignatureDefault
.amdgcn_target "amdgcn-amd-amdhsa--gfx942"
.text
.protected Cijk_Ailk_Bljk_F8F8S_BH_MT256x256x64_MI32x32x16x1_SN_1LDSB1_APM1_AF0EM1_AF1EM1_AMAS0_ASGT_ASLT_ASEM1_BL1_BS1_CLR0_DTVA0_DTVB0_ETSP_EPS1_ELFLR0_EMLL0_FSSC10_FL0_GLVWA16_GLVWB16_GRCGA1_GRCGB1_GRVW16_GSU1_GSUASB_GLS0_IU1_K1_LBSPPA0_LBSPPB128_LPA0_LPB16_LRVW16_MIAV0_MKFGSU256_NTA0_NTB0_NTC0_NTD0_NEPBS8_NLCA2_NLCB1_ONLL1_PK0_PGR2_PLR5_PKA0_SIA3_SS0_SU32_SUM2_SUS128_SPO0_SRVW16_SSO0_SVW4_TSGRA0_TSGRB0_TT2_256_TLDS0_UMLDSA0_UMLDSB1_USFGROn1_VAW1_VSn1_VW1_VWB1_VFLRP0_WSGRA0_WSGRB0_WG128_2_1_WGM19
.globl Cijk_Ailk_Bljk_F8F8S_BH_MT256x256x64_MI32x32x16x1_SN_1LDSB1_APM1_AF0EM1_AF1EM1_AMAS0_ASGT_ASLT_ASEM1_BL1_BS1_CLR0_DTVA0_DTVB0_ETSP_EPS1_ELFLR0_EMLL0_FSSC10_FL0_GLVWA16_GLVWB16_GRCGA1_GRCGB1_GRVW16_GSU1_GSUASB_GLS0_IU1_K1_LBSPPA0_LBSPPB128_LPA0_LPB16_LRVW16_MIAV0_MKFGSU256_NTA0_NTB0_NTC0_NTD0_NEPBS8_NLCA2_NLCB1_ONLL1_PK0_PGR2_PLR5_PKA0_SIA3_SS0_SU32_SUM2_SUS128_SPO0_SRVW16_SSO0_SVW4_TSGRA0_TSGRB0_TT2_256_TLDS0_UMLDSA0_UMLDSB1_USFGROn1_VAW1_VSn1_VW1_VWB1_VFLRP0_WSGRA0_WSGRB0_WG128_2_1_WGM19
.p2align 8
.type Cijk_Ailk_Bljk_F8F8S_BH_MT256x256x64_MI32x32x16x1_SN_1LDSB1_APM1_AF0EM1_AF1EM1_AMAS0_ASGT_ASLT_ASEM1_BL1_BS1_CLR0_DTVA0_DTVB0_ETSP_EPS1_ELFLR0_EMLL0_FSSC10_FL0_GLVWA16_GLVWB16_GRCGA1_GRCGB1_GRVW16_GSU1_GSUASB_GLS0_IU1_K1_LBSPPA0_LBSPPB128_LPA0_LPB16_LRVW16_MIAV0_MKFGSU256_NTA0_NTB0_NTC0_NTD0_NEPBS8_NLCA2_NLCB1_ONLL1_PK0_PGR2_PLR5_PKA0_SIA3_SS0_SU32_SUM2_SUS128_SPO0_SRVW16_SSO0_SVW4_TSGRA0_TSGRB0_TT2_256_TLDS0_UMLDSA0_UMLDSB1_USFGROn1_VAW1_VSn1_VW1_VWB1_VFLRP0_WSGRA0_WSGRB0_WG128_2_1_WGM19,@function
.section .rodata,#alloc
.p2align 6
.amdhsa_kernel Cijk_Ailk_Bljk_F8F8S_BH_MT256x256x64_MI32x32x16x1_SN_1LDSB1_APM1_AF0EM1_AF1EM1_AMAS0_ASGT_ASLT_ASEM1_BL1_BS1_CLR0_DTVA0_DTVB0_ETSP_EPS1_ELFLR0_EMLL0_FSSC10_FL0_GLVWA16_GLVWB16_GRCGA1_GRCGB1_GRVW16_GSU1_GSUASB_GLS0_IU1_K1_LBSPPA0_LBSPPB128_LPA0_LPB16_LRVW16_MIAV0_MKFGSU256_NTA0_NTB0_NTC0_NTD0_NEPBS8_NLCA2_NLCB1_ONLL1_PK0_PGR2_PLR5_PKA0_SIA3_SS0_SU32_SUM2_SUS128_SPO0_SRVW16_SSO0_SVW4_TSGRA0_TSGRB0_TT2_256_TLDS0_UMLDSA0_UMLDSB1_USFGROn1_VAW1_VSn1_VW1_VWB1_VFLRP0_WSGRA0_WSGRB0_WG128_2_1_WGM19
  .amdhsa_user_sgpr_kernarg_segment_ptr 1
  .amdhsa_user_sgpr_kernarg_preload_offset 0
  .amdhsa_user_sgpr_kernarg_preload_length 0
  .amdhsa_user_sgpr_count 2
  .amdhsa_accum_offset 256 // accvgpr offset
  .amdhsa_next_free_vgpr 512 // vgprs
  .amdhsa_next_free_sgpr 63 // sgprs
  .amdhsa_group_segment_fixed_size 34816 // lds bytes
  .amdhsa_private_segment_fixed_size 0
  .amdhsa_system_sgpr_workgroup_id_x 1
  .amdhsa_system_sgpr_workgroup_id_y 1
  .amdhsa_system_sgpr_workgroup_id_z 1
  .amdhsa_system_vgpr_workitem_id 0
  .amdhsa_float_denorm_mode_32 3
  .amdhsa_float_denorm_mode_16_64 3
.end_amdhsa_kernel
.text

/******************************************/
/* Optimizations and Config:              */
/******************************************/
/* ThreadTile= 32 x 8 */
/* SubGroup= 8 x 32 */
/* VectorWidthA=1 */
/* VectorWidthB=1 */
/* GlobalLoadVectorWidthA=16, GlobalLoadVectorWidthB=16 */
/* DirectToLdsA=False */
/* DirectToLdsB=False */
/* UseSgprForGRO=False */
.amdgpu_metadata
---
amdhsa.version:
  - 1
  - 1
amdhsa.target: amdgcn-amd-amdhsa--gfx942
amdhsa.kernels:
  - .name: Cijk_Ailk_Bljk_F8F8S_BH_MT256x256x64_MI32x32x16x1_SN_1LDSB1_APM1_AF0EM1_AF1EM1_AMAS0_ASGT_ASLT_ASEM1_BL1_BS1_CLR0_DTVA0_DTVB0_ETSP_EPS1_ELFLR0_EMLL0_FSSC10_FL0_GLVWA16_GLVWB16_GRCGA1_GRCGB1_GRVW16_GSU1_GSUASB_GLS0_IU1_K1_LBSPPA0_LBSPPB128_LPA0_LPB16_LRVW16_MIAV0_MKFGSU256_NTA0_NTB0_NTC0_NTD0_NEPBS8_NLCA2_NLCB1_ONLL1_PK0_PGR2_PLR5_PKA0_SIA3_SS0_SU32_SUM2_SUS128_SPO0_SRVW16_SSO0_SVW4_TSGRA0_TSGRB0_TT2_256_TLDS0_UMLDSA0_UMLDSB1_USFGROn1_VAW1_VSn1_VW1_VWB1_VFLRP0_WSGRA0_WSGRB0_WG128_2_1_WGM19
    .symbol: 'Cijk_Ailk_Bljk_F8F8S_BH_MT256x256x64_MI32x32x16x1_SN_1LDSB1_APM1_AF0EM1_AF1EM1_AMAS0_ASGT_ASLT_ASEM1_BL1_BS1_CLR0_DTVA0_DTVB0_ETSP_EPS1_ELFLR0_EMLL0_FSSC10_FL0_GLVWA16_GLVWB16_GRCGA1_GRCGB1_GRVW16_GSU1_GSUASB_GLS0_IU1_K1_LBSPPA0_LBSPPB128_LPA0_LPB16_LRVW16_MIAV0_MKFGSU256_NTA0_NTB0_NTC0_NTD0_NEPBS8_NLCA2_NLCB1_ONLL1_PK0_PGR2_PLR5_PKA0_SIA3_SS0_SU32_SUM2_SUS128_SPO0_SRVW16_SSO0_SVW4_TSGRA0_TSGRB0_TT2_256_TLDS0_UMLDSA0_UMLDSB1_USFGROn1_VAW1_VSn1_VW1_VWB1_VFLRP0_WSGRA0_WSGRB0_WG128_2_1_WGM19.kd'
    .language:                   OpenCL C
    .language_version:
      - 2
      - 0
    .args:
      - .name:            Tensor2dSizeA
        .size:            8
        .offset:          0
        .value_kind:      by_value
        .value_type:      u64
      - .name:            Tensor2dSizeB
        .size:            8
        .offset:          8
        .value_kind:      by_value
        .value_type:      u64
      - .name:            AddressD
        .size:            8
        .offset:          16
        .value_kind:      by_value
        .value_type:      u64
      - .name:            AddressC
        .size:            8
        .offset:          24
        .value_kind:      by_value
        .value_type:      u64
      - .name:            AddressA
        .size:            8
        .offset:          32
        .value_kind:      by_value
        .value_type:      u64
      - .name:            AddressB
        .size:            8
        .offset:          40
        .value_kind:      by_value
        .value_type:      u64
      - .name:            Alpha
        .size:            4
        .offset:          48
        .value_kind:      by_value
        .value_type:      u32
      - .name:            Beta
        .size:            4
        .offset:          52
        .value_kind:      by_value
        .value_type:      u32
      - .name:            StridesD
        .size:            8
        .offset:          56
        .value_kind:      by_value
        .value_type:      u64
      - .name:            StridesC
        .size:            8
        .offset:          64
        .value_kind:      by_value
        .value_type:      u64
      - .name:            StridesA
        .size:            8
        .offset:          72
        .value_kind:      by_value
        .value_type:      u64
      - .name:            StridesB
        .size:            8
        .offset:          80
        .value_kind:      by_value
        .value_type:      u64
      - .name:            SizesFree
        .size:            12
        .offset:          88
        .value_kind:      by_value
        .value_type:      u96
      - .name:            SizesSum
        .size:            4
        .offset:          100
        .value_kind:      by_value
        .value_type:      u32
      - .name:            OrigStaggerUIter
        .size:            4
        .offset:          104
        .value_kind:      by_value
        .value_type:      u32
      - .name:            NumWorkGroups0
        .size:            4
        .offset:          108
        .value_kind:      by_value
        .value_type:      u32
      - .name:            NumWorkGroups1
        .size:            4
        .offset:          112
        .value_kind:      by_value
        .value_type:      u32
      - .name:            NumFullBlocks
        .size:            4
        .offset:          116
        .value_kind:      by_value
        .value_type:      u32
      - .name:            WgmRemainder1
        .size:            4
        .offset:          120
        .value_kind:      by_value
        .value_type:      u32
      - .name:            MagicNumberWgmRemainder1
        .size:            4
        .offset:          124
        .value_kind:      by_value
        .value_type:      u32
    .group_segment_fixed_size:   34816
    .kernarg_segment_align:      8
    .kernarg_segment_size:       128
    .max_flat_workgroup_size:    256
    .private_segment_fixed_size: 0
    .sgpr_count:                 63
    .sgpr_spill_count:           0
    .vgpr_count:                 256
    .vgpr_spill_count:           0
    .wavefront_size:             64
...
.end_amdgpu_metadata
Cijk_Ailk_Bljk_F8F8S_BH_MT256x256x64_MI32x32x16x1_SN_1LDSB1_APM1_AF0EM1_AF1EM1_AMAS0_ASGT_ASLT_ASEM1_BL1_BS1_CLR0_DTVA0_DTVB0_ETSP_EPS1_ELFLR0_EMLL0_FSSC10_FL0_GLVWA16_GLVWB16_GRCGA1_GRCGB1_GRVW16_GSU1_GSUASB_GLS0_IU1_K1_LBSPPA0_LBSPPB128_LPA0_LPB16_LRVW16_MIAV0_MKFGSU256_NTA0_NTB0_NTC0_NTD0_NEPBS8_NLCA2_NLCB1_ONLL1_PK0_PGR2_PLR5_PKA0_SIA3_SS0_SU32_SUM2_SUS128_SPO0_SRVW16_SSO0_SVW4_TSGRA0_TSGRB0_TT2_256_TLDS0_UMLDSA0_UMLDSB1_USFGROn1_VAW1_VSn1_VW1_VWB1_VFLRP0_WSGRA0_WSGRB0_WG128_2_1_WGM19:

/******************************************/
/* Asm syntax workarounds                 */
/******************************************/
.macro _v_add_co_u32 dst:req, cc:req, src0:req, src1:req, dpp=
   v_add_co_u32 \dst, \cc, \src0, \src1 \dpp
.endm

.macro _v_add_u32 dst:req, src0:req, src1:req, dpp=
   v_add_u32 \dst, \src0, \src1 \dpp
.endm

.macro _v_add_i32 dst:req, src0:req, src1:req, dpp=
   v_add_i32 \dst, \src0, \src1 \dpp
.endm

.macro _v_addc_co_u32 dst:req, ccOut:req, src0:req, ccIn:req, src1:req, dpp=
   v_addc_co_u32 \dst, \ccOut, \src0, \ccIn, \src1 \dpp
.endm

.macro _v_sub_co_u32 dst:req, cc:req, src0:req, src1:req, dpp=
   v_sub_co_u32 \dst, \cc, \src0, \src1 \dpp
.endm

.macro _v_sub_u32 dst:req, src0:req, src1:req, dpp=
   v_sub_u32 \dst, \src0, \src1 \dpp
.endm

.macro _v_sub_i32 dst:req, src0:req, src1:req, dpp=
   v_sub_i32 \dst, \src0, \src1 \dpp
.endm

.macro _v_add_lshl_u32 dst:req, src0:req, src1:req, shiftCnt:req
    v_add_lshl_u32 \dst, \src0, \src1, \shiftCnt
.endm

.macro _v_lshl_add_u32 dst:req, src0:req, src1:req, shiftCnt:req
    v_lshl_add_u32 \dst, \src0, \src1, \shiftCnt
.endm

.macro _v_lshl_or_b32 dst:req, src0:req, shiftCnt:req, src1:req
    v_lshl_or_b32 \dst, \src0, \shiftCnt, \src1
.endm

.macro _v_dot2acc_f32_f16 dst, src0, src1
v_dot2c_f32_f16 \dst, \src0, \src1
.endm

.macro _v_cmpx_lt_i16 dst, src0, src1=
   v_cmpx_lt_i16 \dst, \src0, \src1 
.endm

.macro _v_cmpx_lt_i32 dst, src0, src1=
   v_cmpx_lt_i32 \dst, \src0, \src1 
.endm

.macro _v_cmpx_lt_i64 dst, src0, src1=
   v_cmpx_lt_i64 \dst, \src0, \src1 
.endm

.macro _v_cmpx_lt_u16 dst, src0, src1=
   v_cmpx_lt_u16 \dst, \src0, \src1 
.endm

.macro _v_cmpx_lt_u32 dst, src0, src1=
   v_cmpx_lt_u32 \dst, \src0, \src1 
.endm

.macro _v_cmpx_lt_u64 dst, src0, src1=
   v_cmpx_lt_u64 \dst, \src0, \src1 
.endm

.macro _v_cmpx_eq_i16 dst, src0, src1=
   v_cmpx_eq_i16 \dst, \src0, \src1 
.endm

.macro _v_cmpx_eq_i32 dst, src0, src1=
   v_cmpx_eq_i32 \dst, \src0, \src1 
.endm

.macro _v_cmpx_eq_i64 dst, src0, src1=
   v_cmpx_eq_i64 \dst, \src0, \src1 
.endm

.macro _v_cmpx_eq_u16 dst, src0, src1=
   v_cmpx_eq_u16 \dst, \src0, \src1 
.endm

.macro _v_cmpx_eq_u32 dst, src0, src1=
   v_cmpx_eq_u32 \dst, \src0, \src1 
.endm

.macro _v_cmpx_eq_u64 dst, src0, src1=
   v_cmpx_eq_u64 \dst, \src0, \src1 
.endm

.macro _v_cmpx_le_i16 dst, src0, src1=
   v_cmpx_le_i16 \dst, \src0, \src1 
.endm

.macro _v_cmpx_le_i32 dst, src0, src1=
   v_cmpx_le_i32 \dst, \src0, \src1 
.endm

.macro _v_cmpx_le_i64 dst, src0, src1=
   v_cmpx_le_i64 \dst, \src0, \src1 
.endm

.macro _v_cmpx_le_u16 dst, src0, src1=
   v_cmpx_le_u16 \dst, \src0, \src1 
.endm

.macro _v_cmpx_le_u32 dst, src0, src1=
   v_cmpx_le_u32 \dst, \src0, \src1 
.endm

.macro _v_cmpx_le_u64 dst, src0, src1=
   v_cmpx_le_u64 \dst, \src0, \src1 
.endm

.macro _v_cmpx_gt_i16 dst, src0, src1=
   v_cmpx_gt_i16 \dst, \src0, \src1 
.endm

.macro _v_cmpx_gt_i32 dst, src0, src1=
   v_cmpx_gt_i32 \dst, \src0, \src1 
.endm

.macro _v_cmpx_gt_i64 dst, src0, src1=
   v_cmpx_gt_i64 \dst, \src0, \src1 
.endm

.macro _v_cmpx_gt_u16 dst, src0, src1=
   v_cmpx_gt_u16 \dst, \src0, \src1 
.endm

.macro _v_cmpx_gt_u32 dst, src0, src1=
   v_cmpx_gt_u32 \dst, \src0, \src1 
.endm

.macro _v_cmpx_gt_u64 dst, src0, src1=
   v_cmpx_gt_u64 \dst, \src0, \src1 
.endm

.macro _v_cmpx_ne_i16 dst, src0, src1=
   v_cmpx_ne_i16 \dst, \src0, \src1 
.endm

.macro _v_cmpx_ne_i32 dst, src0, src1=
   v_cmpx_ne_i32 \dst, \src0, \src1 
.endm

.macro _v_cmpx_ne_i64 dst, src0, src1=
   v_cmpx_ne_i64 \dst, \src0, \src1 
.endm

.macro _v_cmpx_ne_u16 dst, src0, src1=
   v_cmpx_ne_u16 \dst, \src0, \src1 
.endm

.macro _v_cmpx_ne_u32 dst, src0, src1=
   v_cmpx_ne_u32 \dst, \src0, \src1 
.endm

.macro _v_cmpx_ne_u64 dst, src0, src1=
   v_cmpx_ne_u64 \dst, \src0, \src1 
.endm

.macro _v_cmpx_lg_i16 dst, src0, src1=
   v_cmpx_lg_i16 \dst, \src0, \src1 
.endm

.macro _v_cmpx_lg_i32 dst, src0, src1=
   v_cmpx_lg_i32 \dst, \src0, \src1 
.endm

.macro _v_cmpx_lg_i64 dst, src0, src1=
   v_cmpx_lg_i64 \dst, \src0, \src1 
.endm

.macro _v_cmpx_lg_u16 dst, src0, src1=
   v_cmpx_lg_u16 \dst, \src0, \src1 
.endm

.macro _v_cmpx_lg_u32 dst, src0, src1=
   v_cmpx_lg_u32 \dst, \src0, \src1 
.endm

.macro _v_cmpx_lg_u64 dst, src0, src1=
   v_cmpx_lg_u64 \dst, \src0, \src1 
.endm

.macro _v_cmpx_ge_i16 dst, src0, src1=
   v_cmpx_ge_i16 \dst, \src0, \src1 
.endm

.macro _v_cmpx_ge_i32 dst, src0, src1=
   v_cmpx_ge_i32 \dst, \src0, \src1 
.endm

.macro _v_cmpx_ge_i64 dst, src0, src1=
   v_cmpx_ge_i64 \dst, \src0, \src1 
.endm

.macro _v_cmpx_ge_u16 dst, src0, src1=
   v_cmpx_ge_u16 \dst, \src0, \src1 
.endm

.macro _v_cmpx_ge_u32 dst, src0, src1=
   v_cmpx_ge_u32 \dst, \src0, \src1 
.endm

.macro _v_cmpx_ge_u64 dst, src0, src1=
   v_cmpx_ge_u64 \dst, \src0, \src1 
.endm

.macro _v_cmpx_o_i16 dst, src0, src1=
   v_cmpx_o_i16 \dst, \src0, \src1 
.endm

.macro _v_cmpx_o_i32 dst, src0, src1=
   v_cmpx_o_i32 \dst, \src0, \src1 
.endm

.macro _v_cmpx_o_i64 dst, src0, src1=
   v_cmpx_o_i64 \dst, \src0, \src1 
.endm

.macro _v_cmpx_o_u16 dst, src0, src1=
   v_cmpx_o_u16 \dst, \src0, \src1 
.endm

.macro _v_cmpx_o_u32 dst, src0, src1=
   v_cmpx_o_u32 \dst, \src0, \src1 
.endm

.macro _v_cmpx_o_u64 dst, src0, src1=
   v_cmpx_o_u64 \dst, \src0, \src1 
.endm

.macro _v_cmpx_u_i16 dst, src0, src1=
   v_cmpx_u_i16 \dst, \src0, \src1 
.endm

.macro _v_cmpx_u_i32 dst, src0, src1=
   v_cmpx_u_i32 \dst, \src0, \src1 
.endm

.macro _v_cmpx_u_i64 dst, src0, src1=
   v_cmpx_u_i64 \dst, \src0, \src1 
.endm

.macro _v_cmpx_u_u16 dst, src0, src1=
   v_cmpx_u_u16 \dst, \src0, \src1 
.endm

.macro _v_cmpx_u_u32 dst, src0, src1=
   v_cmpx_u_u32 \dst, \src0, \src1 
.endm

.macro _v_cmpx_u_u64 dst, src0, src1=
   v_cmpx_u_u64 \dst, \src0, \src1 
.endm
.macro _v_mac_f32 c:req, a:req, b:req
    v_fmac_f32 \c, \a, \b
.endmacro

/* scale global load macros */
.macro _s_load_b32 dst base offset
    s_load_dword \dst \base \offset
.endm

.macro _s_load_b64 dst base offset
    s_load_dwordx2 \dst \base \offset
.endm

.macro _s_load_b128 dst base offset
    s_load_dwordx4 \dst \base \offset
.endm

.macro _s_load_b256 dst base offset
    s_load_dwordx8 \dst \base \offset
.endm

.macro _s_load_b512 dst base offset
    s_load_dwordx16 \dst \base \offset
.endm


/* ds operation macros */
.macro _ds_load_u8 dst src offset
    ds_read_u8 \dst \src \offset
.endm

.macro _ds_load_u8_d16_hi dst src offset
    ds_read_u8_d16_hi \dst \src \offset
.endm

.macro _ds_load_u16 dst src offset
    ds_read_u16 \dst \src \offset
.endm

.macro _ds_load_u16_d16_hi dst src offset
    ds_read_u16_d16_hi \dst \src \offset
.endm

.macro _ds_load_b32 dst src offset
    ds_read_b32 \dst \src \offset
.endm

.macro _ds_load_b64 dst src offset
    ds_read_b64 \dst \src \offset
.endm

.macro _ds_load_b128 dst src offset
    ds_read_b128 \dst \src \offset
.endm

.macro _ds_store_b8 dst src offset
    ds_write_b8 \dst \src \offset
.endm

.macro _ds_store_b8_d16_hi dst src offset
    ds_write_b8_d16_hi \dst \src \offset
.endm

.macro _ds_store_b16 dst src offset
    ds_write_b16 \dst \src \offset
.endm

.macro _ds_store_b16_d16_hi dst src offset
    ds_write_b16_d16_hi \dst \src \offset
.endm

.macro _ds_store_b32 dst src offset
    ds_write_b32 \dst \src \offset
.endm

.macro _ds_store_b64 dst src offset
    ds_write_b64 \dst \src \offset
.endm

.macro _ds_store_b128 dst src offset
    ds_write_b128 \dst \src \offset
.endm

.macro _ds_load2_b32 dst src offset1 offset2
    ds_read2_b32 \dst \src \offset1 \offset2
.endm

.macro _ds_load2_b64 dst src offset1 offset2
    ds_read2_b64 \dst \src \offset1 \offset2
.endm

.macro _ds_store2_b32 dst src offset1 offset2
    ds_write2_b32 \dst \src \offset1 \offset2
.endm

.macro _ds_store2_b64 dst src offset1 offset2
    ds_write2_b64 \dst \src \offset1 \offset2
.endm


/* buffer memory operation macros */
.macro _buffer_load_b32 dst voffset base soffset offen ioffset md0 md1 md2
    buffer_load_dword \dst \voffset \base \soffset \offen \ioffset \md0 \md1 \md2
.endm

.macro _buffer_load_b64 dst voffset base soffset offen ioffset md0 md1 md2
    buffer_load_dwordx2 \dst \voffset \base \soffset \offen \ioffset \md0 \md1 \md2
.endm

.macro _buffer_load_b96 dst voffset base soffset offen ioffset md0 md1 md2
    buffer_load_dwordx3 \dst \voffset \base \soffset \offen \ioffset \md0 \md1 \md2
.endm

.macro _buffer_load_b128 dst voffset base soffset offen ioffset md0 md1 md2
    buffer_load_dwordx4 \dst \voffset \base \soffset \offen \ioffset \md0 \md1 \md2
.endm

.macro _buffer_load_d16_b16 dst voffset base soffset offen ioffset md0 md1 md2
    buffer_load_short_d16 \dst \voffset \base \soffset \offen \ioffset \md0 \md1 \md2
.endm

.macro _buffer_load_d16_hi_b16 dst voffset base soffset offen ioffset md0 md1 md2
    buffer_load_short_d16_hi \dst \voffset \base \soffset \offen \ioffset \md0 \md1 \md2
.endm

.macro _buffer_load_d16_u8 dst voffset base soffset offen ioffset md0 md1 md2
    buffer_load_ubyte_d16 \dst \voffset \base \soffset \offen \ioffset \md0 \md1 \md2
.endm

.macro _buffer_load_d16_hi_u8 dst voffset base soffset offen ioffset md0 md1 md2
    buffer_load_ubyte_d16_hi \dst \voffset \base \soffset \offen \ioffset \md0 \md1 \md2
.endm

.macro _buffer_load_u16 dst voffset base soffset offen ioffset md0 md1 md2
    buffer_load_ushort \dst \voffset \base \soffset \offen \ioffset \md0 \md1 \md2
.endm

.macro _buffer_load_b32_dtl voffset base soffset offen ioffset md0 md1 md2
    buffer_load_dword \voffset \base \soffset \offen \ioffset \md0 \md1 \md2
.endm

.macro _buffer_load_b64_dtl voffset base soffset offen ioffset md0 md1 md2
    buffer_load_dwordx2 \voffset \base \soffset \offen \ioffset \md0 \md1 \md2
.endm

.macro _buffer_load_b128_dtl voffset base soffset offen ioffset md0 md1 md2
    buffer_load_dwordx4 \voffset \base \soffset \offen \ioffset \md0 \md1 \md2
.endm

.macro _buffer_load_u16_dtl voffset base soffset offen ioffset md0 md1 md2
    buffer_load_ushort \voffset \base \soffset \offen \ioffset \md0 \md1 \md2
.endm

.macro _buffer_store_b32 src voffset base soffset offen ioffset md0 md1 md2
    buffer_store_dword \src \voffset \base \soffset \offen \ioffset \md0 \md1 \md2
.endm

.macro _buffer_store_b64 src voffset base soffset offen ioffset md0 md1 md2
    buffer_store_dwordx2 \src \voffset \base \soffset \offen \ioffset \md0 \md1 \md2
.endm

.macro _buffer_store_b96 src voffset base soffset offen ioffset md0 md1 md2
    buffer_store_dwordx3 \src \voffset \base \soffset \offen \ioffset \md0 \md1 \md2
.endm

.macro _buffer_store_b128 src voffset base soffset offen ioffset md0 md1 md2
    buffer_store_dwordx4 \src \voffset \base \soffset \offen \ioffset \md0 \md1 \md2
.endm

.macro _buffer_store_b16 src voffset base soffset offen ioffset md0 md1 md2
    buffer_store_short \src \voffset \base \soffset \offen \ioffset \md0 \md1 \md2
.endm

.macro _buffer_store_d16_hi_b16 src voffset base soffset offen ioffset md0 md1 md2
    buffer_store_short_d16_hi \src \voffset \base \soffset \offen \ioffset \md0 \md1 \md2
.endm

.macro _buffer_store_b8 src voffset base soffset offen ioffset md0 md1 md2
    buffer_store_byte \src \voffset \base \soffset \offen \ioffset \md0 \md1 \md2
.endm

.macro _buffer_store_d16_hi_b8 src voffset base soffset offen ioffset md0 md1 md2
    buffer_store_byte_d16_hi \src \voffset \base \soffset \offen \ioffset \md0 \md1 \md2
.endm

.macro _buffer_atomic_cmpswap_b32 dst voffset base soffset offen ioffset md0 md1 md2
    buffer_atomic_cmpswap \dst \voffset \base \soffset \offen \ioffset \md0 \md1 \md2
.endm

.macro _buffer_atomic_cmpswap_b64 dst voffset base soffset offen ioffset md0 md1 md2
    buffer_atomic_cmpswap_x2 \dst \voffset \base \soffset \offen \ioffset \md0 \md1 \md2
.endm


/* buffer memory operation macros */
.macro _global_load_b32 dst base src ioffset md0 md1 md2
    global_load_dword \dst \base \src \ioffset \md0 \md1 \md2
.endm

.macro _global_load_b64 dst base src ioffset md0 md1 md2
    global_load_dwordx2 \dst \base \src \ioffset \md0 \md1 \md2
.endm

.macro _global_load_b96 dst base src ioffset md0 md1 md2
    global_load_dwordx3 \dst \base \src \ioffset \md0 \md1 \md2
.endm

.macro _global_load_b128 dst base src ioffset md0 md1 md2
    global_load_dwordx4 \dst \base \src \ioffset \md0 \md1 \md2
.endm

.macro _global_load_d16_b16 dst base src ioffset md0 md1 md2
    global_load_short_d16 \dst \base \src \ioffset \md0 \md1 \md2
.endm

.macro _global_load_d16_hi_b16 dst base src ioffset md0 md1 md2
    global_load_short_d16_hi \dst \base \src \ioffset \md0 \md1 \md2
.endm

.macro _global_load_d16_u8 dst base src ioffset md0 md1 md2
    global_load_ubyte_d16 \dst \base \src \ioffset \md0 \md1 \md2
.endm

.macro _global_load_d16_hi_u8 dst base src ioffset md0 md1 md2
    global_load_ubyte_d16_hi \dst \base \src \ioffset \md0 \md1 \md2
.endm

.macro _global_load_u16 dst base src ioffset md0 md1 md2
    global_load_ushort \dst \base \src \ioffset \md0 \md1 \md2
.endm

.macro _global_store_b32 base src src2 md0 md1 md2
    global_store_dword \base \src \src2 \md0 \md1 \md2
.endm

.macro _global_store_b64 base src src2 md0 md1 md2
    global_store_dwordx2 \base \src \src2 \md0 \md1 \md2
.endm

.macro _global_store_b96 base src src2 md0 md1 md2
    global_store_dwordx3 \base \src \src2 \md0 \md1 \md2
.endm

.macro _global_store_b128 base src src2 md0 md1 md2
    global_store_dwordx4 \base \src \src2 \md0 \md1 \md2
.endm

.macro _global_store_d16_b16 base src src2 md0 md1 md2
    global_store_short \base \src \src2 \md0 \md1 \md2
.endm

.macro _global_store_d16_hi_b16 base src src2 md0 md1 md2
    global_store_short_d16_hi \base \src \src2 \md0 \md1 \md2
.endm

.macro _global_store_d16_u8 base src src2 md0 md1 md2
    global_store_ubyte_d16 \base \src \src2 \md0 \md1 \md2
.endm

.macro _global_store_d16_hi_u8 base src src2 md0 md1 md2
    global_store_ubyte_d16_hi \base \src \src2 \md0 \md1 \md2
.endm

.macro _global_store_u16 base src src2 md0 md1 md2
    global_store_ushort \base \src \src2 \md0 \md1 \md2
.endm

.macro _global_atomic_cmpswap_b32 tmp base data src ioffset md
    global_atomic_cmpswap \tmp \base \data \src \ioffset \md
.endm

.macro _global_atomic_cmpswap_b64 tmp base data src ioffset md
    global_atomic_cmpswap_x2 \tmp \base \data \src \ioffset \md
.endm


/******************************************/
/* Magic div and mod functions            */
/******************************************/
.macro V_MAGIC_DIV dstIdx:req, dividend:req, magicNumber:req, magicShift:req, magicA:req
    v_mul_hi_u32 v[\dstIdx+1], \dividend, \magicNumber
    v_mul_lo_u32 v[\dstIdx+0], \dividend, \magicA
    _v_add_u32 v[\dstIdx+0], v[\dstIdx+0], v[\dstIdx+1]
    v_lshrrev_b32 v[\dstIdx+0], \magicShift, v[\dstIdx+0]
.endm

/******************************************/
/* VGPR Assignments                       */
/******************************************/
/* ValuC range: [0-0), serializedStore enabled */
.set vgprValuC, 0
/* ValuA/B   Xn=PLR buffer idx,  In=InnerUnroll idx */
.set vgprValuA_X0_I0, 0
.set vgprValuA_X1_I0, 4
.set vgprValuA_X2_I0, 8
.set vgprValuA_X3_I0, 12
.set vgprG2LA, 90
.set vgprValuB_X0_I0, 16
.set vgprValuB_X1_I0, 32
.set vgprValuB_X2_I0, 48
.set vgprValuB_X3_I0, 64
.set vgprG2LB, 106
.set vgprLocalWriteAddrA, 80
.set vgprLocalWriteAddrB, 81
.set vgprGlobalReadOffsetA, 82
.set vgprGlobalReadOffsetB, 86
.set vgprLocalReadAddrA, 122
.set vgprLocalReadAddrB, 123
.set vgprSerial, 124
/* Num VGPR=256 */
/* Num AccVGPR=256 */

/******************************************/
/* SGPR Assignments                       */
/******************************************/
.set sgprKernArgAddress, 0 // (2)
.set sgprWorkGroup0, 2 // (1)
.set sgprWorkGroup1, 3 // (1)
.set sgprWorkGroup2, 4 // (1)
.set sgprLoopCounterL, 5 // (1)
.set sgprOrigLoopCounter, 6 // (1)
.set sgprSrdA, 8 // (4)
.set sgprSrdB, 12 // (4)
.set sgprSrdD, 16 // (4)
.set sgprSrdC, 20 // (4)
.set sgprTensor2dSizeA, 24 // (2)
.set sgprTensor2dSizeB, 26 // (2)
.set sgprAddressD, 28 // (2)
.set sgprAddressC, 30 // (2)
.set sgprAddressA, 32 // (2)
.set sgprAddressB, 34 // (2)
.set sgprAlpha, 36 // (1)
.set sgprBeta, 37 // (1)
.set sgprStridesD, 38 // (2)
.set sgprStridesC, 40 // (2)
.set sgprStridesA, 42 // (2)
.set sgprStridesB, 44 // (2)
.set sgprSizesFree, 46 // (3)
.set sgprSizesSum, 49 // (1)
.set sgprOrigStaggerUIter, 50 // (1)
.set sgprNumWorkGroups0, 51 // (1)
.set sgprNumWorkGroups1, 52 // (1)
.set sgprNumFullBlocks, 53 // (1)
.set sgprWgmRemainder1, 54 // (1)
.set sgprMagicNumberWgmRemainder1, 55 // (1)
.set sgprShadowLimitA, 0 // (2)
.set sgprShadowLimitB, 28 // (2)
.set sgprStaggerUIter, 7 // (1)
.set sgprWrapUA, 30 // (2)
.set sgprWrapUB, 32 // (2)
.set sgprGlobalReadIncsA, 34 // (1)
.set sgprGlobalReadIncsB, 35 // (1)
/* max SGPR=63 */

/* Size Assignments */
.set sgprSizeI, sgprSizesFree+0
.set sgprSizeJ, sgprSizesFree+1
.set sgprSizeK, sgprSizesFree+2
.set sgprSizeL, sgprSizesSum+0

/* Stride Assignments */
.set constStrideD0I, 1
.set sgprStrideD1J, sgprStridesD+0
.set sgprStrideDK, sgprStridesD+1
.set constStrideC0I, 1
.set sgprStrideC1J, sgprStridesC+0
.set sgprStrideCK, sgprStridesC+1
.set constStrideA0I, 1
.set sgprStrideAL, sgprStridesA+0
.set sgprStrideAK, sgprStridesA+1
.set constStrideBL, 1
.set sgprStrideB1J, sgprStridesB+0
.set sgprStrideBK, sgprStridesB+1

.set MT0, 256
.set MT1, 256
.set DepthU, 64
.set GSU, 1
.set BpeA, 1
.set BpeALog2, 0
.set BpeB, 1
.set BpeBLog2, 0
/* Number of elements to shift-left SRD */
.set SrdShiftLeftA, 16
.set SrdShiftLeftB, 16
/* 2GB limit - set offsets to -1 to exceed this and clamp */
.set BufferLimitA, 0xffffffff
.set BufferLimitB, 0xffffffff
.set BufferOOB, 0xfffff000

/******************************************/
/* Bits 127:96 of SRD.                    */
/* hex: 0x00020000                        */
/* dst_sel_x (3b): 0                      */
/* dst_sel_y (3b): 0                      */
/* dst_sel_z (3b): 0                      */
/* dst_sel_w (3b): 0                      */
/* num_format (3b): 0                     */
/* data_format (4b): 4                    */
/* user_vm_enable (1b): 0                 */
/* user_vm_mode (1b): 0                   */
/* index_stride (2b): 0                   */
/* add_tid_enable (1b): 0                 */
/* _unusedA (3b): 0                       */
/* nv (1b): 0                             */
/* _unusedB (2b): 0                       */
/* type (2b): 0                           */
/******************************************/
.set Srd127_96, 0x00020000

/* Global Offset A */
.macro GLOBAL_OFFSET_A vgprAddr:req vgprOffset0I:req vgprOffsetL:req vgprTmp:req
v_mul_lo_u32 v[\vgprTmp+0], s[sgprStrideAL], v[\vgprOffsetL] // mul d1 lower
_v_add_co_u32 v[\vgprAddr+0], vcc, v[\vgprOffset0I], v[\vgprTmp+0] // accumulate K lower
_v_add_u32 v[\vgprAddr+0], 0x10, v[\vgprAddr+0]    // add prepad for pointer shift
                                                   // offset *= bytes/element (multiplier is 1, do nothing)
.endm

/* Global Offset B */
.macro GLOBAL_OFFSET_B vgprAddr:req vgprOffsetL:req vgprOffset1J:req vgprTmp:req
v_mul_lo_u32 v[\vgprTmp+0], s[sgprStrideB1J], v[\vgprOffset1J] // mul d1 lower
_v_add_co_u32 v[\vgprAddr+0], vcc, v[\vgprOffsetL], v[\vgprTmp+0] // accumulate K lower
_v_add_u32 v[\vgprAddr+0], 0x10, v[\vgprAddr+0]    // add prepad for pointer shift
                                                   // offset *= bytes/element (multiplier is 1, do nothing)
.endm

/******************************************/
/* Dynamic Scalar Divide: vQuotient=vDividend/vDivisor; vRemainder=vDividend%vDivisor; */
/******************************************/
.macro DYNAMIC_VECTOR_DIVIDE vQuotient vRemainder vDividend vDivisor vTmp0 vTmp1 sTmp
v_cvt_f32_u32 v[\vQuotient], v[\vDivisor]          // 
v_rcp_f32 v[\vQuotient], v[\vQuotient]             // 
v_mul_f32 v[\vQuotient], 0x4f800000, v[\vQuotient] // 
v_cvt_u32_f32 v[\vQuotient], v[\vQuotient]         // 
v_mul_lo_u32 v[\vRemainder], v[\vDivisor], v[\vQuotient] // 
v_mul_hi_u32 v[\vTmp0], v[\vDivisor], v[\vQuotient] // 
_v_sub_co_u32 v[\vTmp1], vcc, 0x0, v[\vRemainder]  // 
v_cmp_ne_i32 s[\sTmp:\sTmp+1], 0x0, v[\vTmp0]      // 
v_cndmask_b32 v[\vRemainder], v[\vTmp1], v[\vRemainder], s[\sTmp:\sTmp+1] // 
v_mul_hi_u32 v[\vRemainder], v[\vRemainder], v[\vQuotient] // 
_v_sub_co_u32 v[\vTmp0], vcc, v[\vQuotient], v[\vRemainder] // 
_v_add_co_u32 v[\vQuotient], vcc, v[\vQuotient], v[\vRemainder] // 
v_cndmask_b32 v[\vQuotient], v[\vQuotient], v[\vTmp0], s[\sTmp:\sTmp+1] // 
v_mul_hi_u32 v[\vQuotient], v[\vQuotient], v[\vDividend] // 
v_mul_lo_u32 v[\vRemainder], v[\vQuotient], v[\vDivisor] // 
_v_sub_co_u32 v[\vTmp0], vcc, v[\vDividend], v[\vRemainder] // 
v_cmp_ge_u32 s[\sTmp:\sTmp+1], v[\vDividend], v[\vRemainder] // 
_v_add_co_u32 v[\vRemainder], vcc, 0x1, v[\vQuotient] // 
_v_add_co_u32 v[\vTmp1], vcc, -1, v[\vQuotient]    // 
v_cmp_le_u32 vcc, v[\vDivisor], v[\vTmp0]          // 
s_and_b64 vcc, s[\sTmp:\sTmp+1], vcc               // 
v_cndmask_b32 v[\vQuotient], v[\vQuotient], v[\vRemainder], vcc // 
v_cndmask_b32 v[\vQuotient], v[\vTmp1], v[\vQuotient], s[\sTmp:\sTmp+1] // 
v_cmp_ne_i32 vcc, 0x0, v[\vDivisor]                // 
v_cndmask_b32 v[\vQuotient], -1, v[\vQuotient], vcc // final result
v_mul_lo_u32 v[\vRemainder], v[\vQuotient], v[\vDivisor] // 
_v_sub_co_u32 v[\vRemainder], vcc, v[\vDividend], v[\vRemainder] // final result
.endm


	;; [unrolled: 1-line block ×3, first 2 shown]
/******************************************/
/* Allocate Resources                     */
/******************************************/

Cijk_Ailk_Bljk_F8F8S_BH_MT256x256x64_MI32x32x16x1_SN_1LDSB1_APM1_AF0EM1_AF1EM1_AMAS0_ASGT_ASLT_ASEM1_BL1_BS1_CLR0_DTVA0_DTVB0_ETSP_EPS1_ELFLR0_EMLL0_FSSC10_FL0_GLVWA16_GLVWB16_GRCGA1_GRCGB1_GRVW16_GSU1_GSUASB_GLS0_IU1_K1_LBSPPA0_LBSPPB128_LPA0_LPB16_LRVW16_MIAV0_MKFGSU256_NTA0_NTB0_NTC0_NTD0_NEPBS8_NLCA2_NLCB1_ONLL1_PK0_PGR2_PLR5_PKA0_SIA3_SS0_SU32_SUM2_SUS128_SPO0_SRVW16_SSO0_SVW4_TSGRA0_TSGRB0_TT2_256_TLDS0_UMLDSA0_UMLDSB1_USFGROn1_VAW1_VSn1_VW1_VWB1_VFLRP0_WSGRA0_WSGRB0_WG128_2_1_WGM19_preloaded: // Kernel start when preloading

/* Load Kernel Args */
_s_load_b512 s[24:39], s[sgprKernArgAddress:sgprKernArgAddress+1], 0x0 // 
_s_load_b512 s[40:55], s[sgprKernArgAddress:sgprKernArgAddress+1], 0x40 // 
s_mov_b32 m0, 0x8800                               // LDS clamp at 34816 bytes
v_mov_b32 v[vgprSerial], v0                        // thread serial id

/******************************************/
/* Local Read Addresses                   */
/******************************************/


/* local read addresses: tile assignments a/b */

/*lr0I*/
v_and_b32 v1, 63, v[vgprSerial]                    // 0. thread id in wave: wtid = tid % wavelength(64)
v_and_b32 v0, 31, v1                               // 1. N offset: nIdx = wtid % MI_N(32)
                                                   // 1. N offset: nOffset = nIdx * nStride(1) (multiplier is 1, do nothing)
                                                   // 2. block offset: bnIdx = bnIdx % num1DBlocks(1) is 0. do nothing
                                                   // 4. apply VectorWidth: bnOffset = bnOffset * vw(1) (multiplier is 1, do nothing)
v_lshrrev_b32 v1, 5, v1                            // 5. K offset: kIdx = wtid / (MIN(32) * MIBB(1))
v_lshlrev_b32 v1, 0xc, v1                          // 5. K offset: lrKOffset = kIdx * mStride(4096)
_v_add_u32 v0, v1, v0                              // 6. offset in wave: lrOffset = bnOffset + lrKOffset
v_lshrrev_b32 v2, 6, v[vgprSerial]                 // 7. wave offset in N dimen: wtid = tid / dividedForWaveId(64)
v_and_b32 v1, 3, v2                                // 7. wave offset in M dimen: wtid0 = wtid / num1DWaves(4)
v_lshlrev_b32 v1, 0x5, v1                          // 7. wave offset in M dimen: wOffset = wtid0 * W0Stride(32)
_v_add_u32 v0, v1, v0                              // 8. final local read offset: flrOffset = lrOffset + WOffset
/*lr1J*/
v_and_b32 v2, 63, v[vgprSerial]                    // 0. thread id in wave: wtid = tid % wavelength(64)
v_and_b32 v1, 31, v2                               // 1. N offset: nIdx = wtid % MI_N(32)
v_lshlrev_b32 v1, 0x6, v1                          // 1. N offset: nOffset = nIdx * nStride(64)
                                                   // 2. block offset: bnIdx = bnIdx % num1DBlocks(1) is 0. do nothing
                                                   // 4. apply VectorWidth: bnOffset = bnOffset * vw(1) (multiplier is 1, do nothing)
v_lshrrev_b32 v2, 5, v2                            // 5. K offset: kIdx = wtid / (MIN(32) * MIBB(1))
v_lshlrev_b32 v2, 0x4, v2                          // 5. K offset: lrKOffset = kIdx * mStride(16)
_v_add_u32 v1, v2, v1                              // 6. offset in wave: lrOffset = bnOffset + lrKOffset


/* local read addresses: final offsets a */

v_lshlrev_b32 v[vgprLocalReadAddrA], 0x0, v0       // Final Offset: offset = (lro0)*bpe


/* local read addresses: final offsets b */

v_lshlrev_b32 v[vgprLocalReadAddrB], 0x0, v1       // Final Offset: offset = (lro1)*bpe
v_lshrrev_b32 v0, 7, v[vgprLocalReadAddrB]         // Final Offset: padding 16 per block 128
v_lshlrev_b32 v0, 0x4, v0                          // Final Offset: padding 16 per block 128
_v_add_u32 v[vgprLocalReadAddrB], v0, v[vgprLocalReadAddrB] // Final Offset: add padding 16 per block 128


/* local read addresses: declare addresses a */

/* N/A */


/* local read addresses: declare addresses b */

_v_add_co_u32 v[vgprLocalReadAddrB+0], vcc, 0x4000, v[vgprLocalReadAddrB+0] //  += LdsOffsetB (lower)


/* global read addresses: tile offset assignment a */

/* LVCA = 8 */
/* v0 = (local)groA-tile = serial%LVCA (note (wgA*MTA) will be added to SRD) */
/* v1 = groA-unroll = serial/LVCA */
v_lshrrev_b32 v1, 3, v[vgprSerial]                 // v1 = v[vgprSerial] / 8
v_and_b32 v0, 7, v[vgprSerial]                     // v0 = v[vgprSerial] % 8
/* gro-tile *= glvw */
v_lshlrev_b32 v0, 0x4, v0                          // v0 = v0 * 16


/* global read addresses: tile offset assignment b */

/* LVCB = 4 */
/* v2 = (local)groB-tile = serial/LVCB (note (wgB*MTB) will be added to SRD) */
/* v3 = groB-unroll = serial%LVCB */
v_lshrrev_b32 v2, 2, v[vgprSerial]                 // v2 = v[vgprSerial] / 4
v_and_b32 v3, 3, v[vgprSerial]                     // v3 = v[vgprSerial] % 4
/* gro-unroll *= glvw */
v_lshlrev_b32 v3, 0x4, v3                          // v3 = v3 * 16


/******************************************/
/* Local Write Addresses                  */
/******************************************/

/* lwaTileAssignmentA = v0 */

/* lwaTileAssignmentB = v2 */

/* lwaUnrollAssignmentA = v1 */

/* lwaUnrollAssignmentB = v3 */


/* local write addresses: first offset a */

v_mul_u32_u24 v[vgprLocalWriteAddrA], 0x100, v1    // lwAL**(MTA + PAD)
_v_add_lshl_u32 v[vgprLocalWriteAddrA], v0, v[vgprLocalWriteAddrA], 0x0 // lwFOA = (lwAA + lwAL*(MT0I+PAD))*bpe


/* local write addresses: first offset b */

v_mul_u32_u24 v[vgprLocalWriteAddrB], 0x40, v2     // lwBL**(DepthU_Compute + PAD)
_v_add_lshl_u32 v[vgprLocalWriteAddrB], v3, v[vgprLocalWriteAddrB], 0x0 // lwFOB = (lwBB + lwBL*(DepthU+PAD))*bpe
v_lshrrev_b32 v4, 7, v[vgprLocalWriteAddrB]        // padding 16 per block 128
v_lshlrev_b32 v4, 0x4, v4                          // padding 16 per block 128
_v_add_u32 v[vgprLocalWriteAddrB], v4, v[vgprLocalWriteAddrB] // add padding 16 per block 128
_v_add_co_u32 v[vgprLocalWriteAddrB], vcc, 0x4000, v[vgprLocalWriteAddrB] // lwFOB = lwB1J + lwBL*MT1J + LDS_OFFSET_B=16384*1


	;; [unrolled: 1-line block ×7, first 2 shown]
s_waitcnt lgkmcnt(0)                               // wait for 128 bytes of kern args
s_mov_b64 s[sgprSrdC+0:sgprSrdC+0+1], s[sgprAddressC+0:sgprAddressC+0+1] // copy addressC
s_mov_b64 s[sgprSrdD+0:sgprSrdD+0+1], s[sgprAddressD+0:sgprAddressD+0+1] // copy addressD
s_sub_u32 s[sgprSrdA+0], s[sgprAddressA+0], 16     // pre-pad to make room for possible pointer shift
s_subb_u32 s[sgprSrdA+1], s[sgprAddressA+1], 0     // pre-pad to make room for possible pointer shift
s_sub_u32 s[sgprSrdB+0], s[sgprAddressB+0], 16     // pre-pad to make room for possible pointer shift
s_subb_u32 s[sgprSrdB+1], s[sgprAddressB+1], 0     // pre-pad to make room for possible pointer shift

.set AddressD, UNDEF
.set AddressC, UNDEF
.set AddressA, UNDEF
.set AddressB, UNDEF

/* Short circuit condition if Alpha == 0, then sumDims=0 */
v_cmp_eq_f32 vcc, s[sgprAlpha], 0.0                // Alpha == 0.0f ?
s_cbranch_vccz label_AlphaNonZero                  // branch if alpha != 0
s_mov_b32 s[sgprSizesSum+0], 0x0                   // Set summation dim=0 if Alpha == 0
label_AlphaNonZero:



/******************************************/
/* Begin setupNewTile, isPap=False           */
/******************************************/


/* global read addresses: work-group */

/* graWorkGroup mapping */
s_mov_b32 s61, 0x6bca1b0L                          // magic number for WGM==19
s_mul_hi_u32 s59, s[sgprWorkGroup1], s61           // s_magic mul
s_mul_i32 s58, s[sgprWorkGroup1], s61              // s_magic mul
s_lshr_b64 s[58:59], s[58:59], 31                  // sMagicDiv
s_mul_i32 s59, s58, 19                             // quotient * non-magic divisor
s_sub_u32 s59, s[sgprWorkGroup1], s59              // WorkGroup1=remainder
s_mul_i32 s59, s59, s[sgprNumWorkGroups0]          // (wg1 % WGM)*nwg0
s_add_u32 s59, s59, s[sgprWorkGroup0]              // wgSerial = wg0 + (wg1 % WGM)*nwg1
s_cmp_ge_u32 s58, s[sgprNumFullBlocks]             // blockId >= numFullBlocks ?
s_cmov_b32 s61, s[sgprMagicNumberWgmRemainder1]    // 
s_cselect_b32 s60, s[sgprWgmRemainder1], 19        // 
s_mul_hi_u32 s3, s59, s61                          // s_magic mul
s_mul_i32 s2, s59, s61                             // s_magic mul
s_lshr_b64 s[2:3], s[2:3], 31                      // sMagicDiv
s_mul_i32 s[sgprWorkGroup1], s[sgprWorkGroup0], s60 // quotient * non-magic divisor
s_sub_u32 s[sgprWorkGroup1], s59, s[sgprWorkGroup1] // WorkGroup1=remainder
s_mul_i32 s58, s58, 19                             // blockId * WGM
s_add_u32 s[sgprWorkGroup1], s[sgprWorkGroup1], s58 // wg1 += blockId * WGM


/* global read addresses: unroll assignment a */

/* v1 */


/* global read addresses: unroll assignment b */

/* v3 */


/* global read addresses: other free assignments */

/* s[sgprWorkGroup2] */


/* global read addresses: tile offsets a */

v_mov_b32 v4, v0                                   // groA0I_0
_v_add_co_u32 v5, vcc, 128, v4                     // groA0I_1 += LSCA


/* global read addresses: tile offsets b */

v_mov_b32 v6, v2                                   // groB1J_0
_v_add_co_u32 v7, vcc, 64, v6                      // groB1J_1 += LSPB
_v_add_co_u32 v8, vcc, 64, v7                      // groB1J_2 += LSPB
_v_add_co_u32 v9, vcc, 64, v8                      // groB1J_3 += LSPB


/* global read addresses: unroll offsets a */

v_mov_b32 v10, v1                                  // groAL_0
_v_add_co_u32 v11, vcc, 32, v10                    // groAL_1 + LSPA


/* global read addresses: unroll offsets b */

v_mov_b32 v12, v3                                  // groBL_0


/* global read addresses: shift a */

s_mul_i32 s58, s[sgprWorkGroup0], 256              // WorkGroup[01] * MT
s_sub_u32 s58, s[sgprSizeI], s58                   // edge = Size0I - WG*MT
s_sub_u32 s58, s58, 16                             // edge -= margin(16)
v_mov_b32 v13, s58                                 // edge vgpr = Size0I- WG*MT - margin(16)
v_min_i32 v4, v13, v4                              // offset = (offset < edge) ? offset(v4) : edge(v13)
v_min_i32 v5, v13, v5                              // offset = (offset < edge) ? offset(v5) : edge(v13)


/* global read addresses: final offsets a */

GLOBAL_OFFSET_A vgprGlobalReadOffsetA+0,  4, 10, 13 // gROA_0_0_0_0
GLOBAL_OFFSET_A vgprGlobalReadOffsetA+1,  5, 10, 13 // gROA_1_0_0_0
GLOBAL_OFFSET_A vgprGlobalReadOffsetA+2,  4, 11, 13 // gROA_0_0_1_0
GLOBAL_OFFSET_A vgprGlobalReadOffsetA+3,  5, 11, 13 // gROA_1_0_1_0


/* global read addresses: final offsets b */

GLOBAL_OFFSET_B vgprGlobalReadOffsetB+0, 12,  6, 13 // gROB_0_0_0_0
GLOBAL_OFFSET_B vgprGlobalReadOffsetB+1, 12,  7, 13 // gROB_0_0_1_0
GLOBAL_OFFSET_B vgprGlobalReadOffsetB+2, 12,  8, 13 // gROB_0_0_2_0
GLOBAL_OFFSET_B vgprGlobalReadOffsetB+3, 12,  9, 13 // gROB_0_0_3_0


/* global read addresses: addresses a */

/* max read offset = size[n] * stride[n-1] */
s_mul_hi_u32 s61, s[sgprWorkGroup0], 256           // WorkGroup[01] * MT
s_mul_i32 s60, s[sgprWorkGroup0], 256              // WorkGroup[01] * MT
s_sub_u32 s[sgprShadowLimitA+0], s[sgprTensor2dSizeA], s60 // sub tileStart
s_subb_u32 s[sgprShadowLimitA+1], s[sgprTensor2dSizeA+1], s61 // sub tileStart
s_lshl_b64 s[sgprShadowLimitA:sgprShadowLimitA+1], s[sgprShadowLimitA:sgprShadowLimitA+1], 0x0 // Set limit to use bytes
s_add_u32 s[sgprShadowLimitA+0], s[sgprShadowLimitA+0], 16 // extend limit for pre-pad
s_addc_u32 s[sgprShadowLimitA+1], s[sgprShadowLimitA+1], 0 // extend limit for pre-pad
s_cmp_eq_u32 s[sgprShadowLimitA+1], 0              // are we within 2^32?
s_cselect_b32 s[sgprSrdA+2], s[sgprShadowLimitA+0], BufferLimitA // Move shadow to real if we are within 2^32
s_mul_hi_u32 s59, s[sgprStrideAK], s[sgprWorkGroup2] // Stride*WG
s_mul_i32 s58, s[sgprStrideAK], s[sgprWorkGroup2]  // Stride*WG
s_add_u32 s60, s60, s58                            // accum wg term to tilestart
s_addc_u32 s61, s61, s59                           // accum wg term to tilestart
                                                   // tileStart *= BPE (multiplier is 1, do nothing)
s_add_u32 s[sgprSrdA+0], s[sgprSrdA+0], s60        // SRD base = Address+ tileStart0
s_addc_u32 s[sgprSrdA+1], s[sgprSrdA+1], s61       // SRD base = Address+ tileStart1
s_mov_b32 s[sgprSrdA+3], Srd127_96                 // Set bits 127_96 in SRD


/* global read addresses: addresses b */

/* max read offset = size[n] * stride[n-1] */
s_mul_hi_u32 s61, s[sgprWorkGroup1], 256           // WorkGroup[01] * MT
s_mul_i32 s60, s[sgprWorkGroup1], 256              // WorkGroup[01] * MT
s_mul_hi_u32 s61, s60, s[sgprStrideB1J]            // tlu=0, scaled tile-offset by stride
s_mul_i32 s60, s60, s[sgprStrideB1J]               // tlu=0, scaled tile-offset by stride
s_sub_u32 s[sgprShadowLimitB+0], s[sgprTensor2dSizeB], s60 // sub tileStart
s_subb_u32 s[sgprShadowLimitB+1], s[sgprTensor2dSizeB+1], s61 // sub tileStart
s_lshl_b64 s[sgprShadowLimitB:sgprShadowLimitB+1], s[sgprShadowLimitB:sgprShadowLimitB+1], 0x0 // Set limit to use bytes
s_add_u32 s[sgprShadowLimitB+0], s[sgprShadowLimitB+0], 16 // extend limit for pre-pad
s_addc_u32 s[sgprShadowLimitB+1], s[sgprShadowLimitB+1], 0 // extend limit for pre-pad
s_cmp_eq_u32 s[sgprShadowLimitB+1], 0              // are we within 2^32?
s_cselect_b32 s[sgprSrdB+2], s[sgprShadowLimitB+0], BufferLimitB // Move shadow to real if we are within 2^32
s_mul_hi_u32 s59, s[sgprStrideBK], s[sgprWorkGroup2] // Stride*WG
s_mul_i32 s58, s[sgprStrideBK], s[sgprWorkGroup2]  // Stride*WG
s_add_u32 s60, s60, s58                            // accum wg term to tilestart
s_addc_u32 s61, s61, s59                           // accum wg term to tilestart
                                                   // tileStart *= BPE (multiplier is 1, do nothing)
s_add_u32 s[sgprSrdB+0], s[sgprSrdB+0], s60        // SRD base = Address+ tileStart0
s_addc_u32 s[sgprSrdB+1], s[sgprSrdB+1], s61       // SRD base = Address+ tileStart1
s_mov_b32 s[sgprSrdB+3], Srd127_96                 // Set bits 127_96 in SRD


/* global read addresses: increments a */

s_mul_i32 s[sgprGlobalReadIncsA+0], DepthU*BpeA, s[sgprStrideAL] // incrA unrollIdx)


/* global read addresses: increments b */

s_mov_b32 s[sgprGlobalReadIncsB+0], DepthU*BpeB    // incrB (unrollIdx)

/* declare loop num iterations */


s_lshr_b32 s[sgprLoopCounterL], s[sgprSizesSum+0], 6 // s[sgprLoopCounterL] = s[sgprSizesSum+0] / 64
s_mov_b32 s[sgprOrigLoopCounter], s[sgprLoopCounterL] // copy loop counter

s_and_b32 s[sgprStaggerUIter], s[sgprOrigStaggerUIter], s[sgprWorkGroup2] // Compute actual stagger start for this tile
s_lshl_b32 s[sgprStaggerUIter], s[sgprStaggerUIter], 1 // shift by StaggerUStride


/* SRDs += (StaggerUIter) * GlobalReadIncsA+0 */
s_mul_hi_u32 s59, s[sgprStaggerUIter], s[sgprGlobalReadIncsA+0] //  stagger byte offset
s_mul_i32 s58, s[sgprStaggerUIter], s[sgprGlobalReadIncsA+0] //  stagger byte offset
s_mul_hi_u32 s[sgprWrapUA+1], s[sgprLoopCounterL], s[sgprGlobalReadIncsA+0] // Number of bytes accessed by the unroll loop
s_mul_i32 s[sgprWrapUA+0], s[sgprLoopCounterL], s[sgprGlobalReadIncsA+0] // Number of bytes accessed by the unroll loop
s_sub_u32 s[sgprWrapUA+0], s[sgprGlobalReadIncsA+0], s[sgprWrapUA+0] // remove one iteration
s_subb_u32 s[sgprWrapUA+1], 0, s[sgprWrapUA+1]     // remove one iteration
s_add_u32 s[sgprSrdA+0], s[sgprSrdA+0], s58        // gra SRD += inc(lower)
s_addc_u32  s[sgprSrdA+1], s[sgprSrdA+1], s59      // gra SRD += inc(upper)
s_sub_u32 s[sgprShadowLimitA+0], s[sgprShadowLimitA+0], s58 // limit -= inc)
s_subb_u32 s[sgprShadowLimitA+1], s[sgprShadowLimitA+1], s59 // limit -= inc)
s_cmp_eq_u32 s[sgprShadowLimitA+1], 0              // are we within 2^32?
s_cselect_b32 s[sgprSrdA+2], s[sgprShadowLimitA+0], BufferLimitA // Move shadow to real if we are within 2^32


/* SRDs += (StaggerUIter) * GlobalReadIncsB+0 */
s_mul_hi_u32 s59, s[sgprStaggerUIter], s[sgprGlobalReadIncsB+0] //  stagger byte offset
s_mul_i32 s58, s[sgprStaggerUIter], s[sgprGlobalReadIncsB+0] //  stagger byte offset
s_mul_hi_u32 s[sgprWrapUB+1], s[sgprLoopCounterL], s[sgprGlobalReadIncsB+0] // Number of bytes accessed by the unroll loop
s_mul_i32 s[sgprWrapUB+0], s[sgprLoopCounterL], s[sgprGlobalReadIncsB+0] // Number of bytes accessed by the unroll loop
s_sub_u32 s[sgprWrapUB+0], s[sgprGlobalReadIncsB+0], s[sgprWrapUB+0] // remove one iteration
s_subb_u32 s[sgprWrapUB+1], 0, s[sgprWrapUB+1]     // remove one iteration
s_add_u32 s[sgprSrdB+0], s[sgprSrdB+0], s58        // gra SRD += inc(lower)
s_addc_u32  s[sgprSrdB+1], s[sgprSrdB+1], s59      // gra SRD += inc(upper)
s_sub_u32 s[sgprShadowLimitB+0], s[sgprShadowLimitB+0], s58 // limit -= inc)
s_subb_u32 s[sgprShadowLimitB+1], s[sgprShadowLimitB+1], s59 // limit -= inc)
s_cmp_eq_u32 s[sgprShadowLimitB+1], 0              // are we within 2^32?
s_cselect_b32 s[sgprSrdB+2], s[sgprShadowLimitB+0], BufferLimitB // Move shadow to real if we are within 2^32
s_add_u32 s[sgprStaggerUIter], s[sgprStaggerUIter], 2 // Subtract (PGR-1); StaggerUIter now contains target iteration to wrap

/* local read addresses: init pointers a */


/* localReadInitPointers */

/* local read addresses: init pointers b */


/* localReadInitPointers */


/* prefetch: global -> local */

s_cmp_eq_u32 s[sgprLoopCounterL], 0                // at last iteration?
s_cbranch_scc1 ShadowInitStart_10                  // skip to ShadowInitStart iter b/c numIter==0


_buffer_load_b128 v[vgprG2LA+0:vgprG2LA+0+3], v[vgprGlobalReadOffsetA+0], s[sgprSrdA:sgprSrdA+3], 0, offen offset:0 // G -> Reg 0_0_0_0
_buffer_load_b128 v[vgprG2LA+4:vgprG2LA+4+3], v[vgprGlobalReadOffsetA+1], s[sgprSrdA:sgprSrdA+3], 0, offen offset:0 // G -> Reg 1_0_0_0
_buffer_load_b128 v[vgprG2LA+8:vgprG2LA+8+3], v[vgprGlobalReadOffsetA+2], s[sgprSrdA:sgprSrdA+3], 0, offen offset:0 // G -> Reg 0_0_1_0
_buffer_load_b128 v[vgprG2LA+12:vgprG2LA+12+3], v[vgprGlobalReadOffsetA+3], s[sgprSrdA:sgprSrdA+3], 0, offen offset:0 // G -> Reg 1_0_1_0


_buffer_load_b128 v[vgprG2LB+0:vgprG2LB+0+3], v[vgprGlobalReadOffsetB+0], s[sgprSrdB:sgprSrdB+3], 0, offen offset:0 // G -> Reg 0_0_0_0
_buffer_load_b128 v[vgprG2LB+4:vgprG2LB+4+3], v[vgprGlobalReadOffsetB+1], s[sgprSrdB:sgprSrdB+3], 0, offen offset:0 // G -> Reg 0_0_1_0
_buffer_load_b128 v[vgprG2LB+8:vgprG2LB+8+3], v[vgprGlobalReadOffsetB+2], s[sgprSrdB:sgprSrdB+3], 0, offen offset:0 // G -> Reg 0_0_2_0
_buffer_load_b128 v[vgprG2LB+12:vgprG2LB+12+3], v[vgprGlobalReadOffsetB+3], s[sgprSrdB:sgprSrdB+3], 0, offen offset:0 // G -> Reg 0_0_3_0


/* global read inc A loopL */
s_add_u32 s60, s[sgprLoopCounterL], 1              // remove pf(1)
s_cmp_eq_u32 s[sgprStaggerUIter], s60              // Is this wrapIter? (pf)
s_cselect_b32 s58, s[sgprWrapUA+0], s[sgprGlobalReadIncsA+0] // incLower <- ?
s_cselect_b32 s59, s[sgprWrapUA+1], 0              // incUpper <- ?
s_add_u32 s[sgprSrdA+0], s[sgprSrdA+0], s58        // gra SRD += inc(lower)
s_addc_u32  s[sgprSrdA+1], s[sgprSrdA+1], s59      // gra SRD += inc(upper)
s_sub_u32 s[sgprShadowLimitA+0], s[sgprShadowLimitA+0], s58 // limit -= inc)
s_subb_u32 s[sgprShadowLimitA+1], s[sgprShadowLimitA+1], s59 // limit -= inc)
s_cmp_eq_u32 s[sgprShadowLimitA+1], 0              // are we within 2^32?
s_cselect_b32 s[sgprSrdA+2], s[sgprShadowLimitA+0], BufferLimitA // Move shadow to real if we are within 2^32

/* global read inc B loopL */
s_add_u32 s60, s[sgprLoopCounterL], 1              // remove pf(1)
s_cmp_eq_u32 s[sgprStaggerUIter], s60              // Is this wrapIter? (pf)
s_cselect_b32 s58, s[sgprWrapUB+0], s[sgprGlobalReadIncsB+0] // incLower <- ?
s_cselect_b32 s59, s[sgprWrapUB+1], 0              // incUpper <- ?
s_add_u32 s[sgprSrdB+0], s[sgprSrdB+0], s58        // gra SRD += inc(lower)
s_addc_u32  s[sgprSrdB+1], s[sgprSrdB+1], s59      // gra SRD += inc(upper)
s_sub_u32 s[sgprShadowLimitB+0], s[sgprShadowLimitB+0], s58 // limit -= inc)
s_subb_u32 s[sgprShadowLimitB+1], s[sgprShadowLimitB+1], s59 // limit -= inc)
s_cmp_eq_u32 s[sgprShadowLimitB+1], 0              // are we within 2^32?
s_cselect_b32 s[sgprSrdB+2], s[sgprShadowLimitB+0], BufferLimitB // Move shadow to real if we are within 2^32


/******************************************/
/* End setupNewTile, isPap=False             */
/******************************************/

ShadowInitStart_10: // 

s_mov_b32 s[sgprSrdD+2], BufferOOB                 // 
s_mov_b32 s[sgprSrdD+3], Srd127_96                 // Set bits 127_96 in post-loop SRD

s_mov_b32 s[sgprSrdC+2], BufferOOB                 // 
s_mov_b32 s[sgprSrdC+3], Srd127_96                 // Set bits 127_96 in post-loop SRD


s_mul_i32 s58, MT1, s[sgprWorkGroup1]              // <- wg1*MT1
s_mul_hi_u32 s57, s58, s[sgprStrideC1J]            // CScale s58 by Stride
s_mul_i32 s56, s58, s[sgprStrideC1J]               // CScale s58 by Stride
s_lshl_b64 s[56:57], s[56:57], 0                   // scale by bpe
s_add_u32 s[sgprSrdC+0], s[sgprSrdC+0], s56        // add lo to SRD
s_addc_u32 s[sgprSrdC+1], s[sgprSrdC+1], s57       // add hi to SRD
s_mul_hi_u32 s57, s58, s[sgprStrideD1J]            // Scale s58 by Stride
s_mul_i32 s56, s58, s[sgprStrideD1J]               // Scale s58 by Stride
s_lshl_b64 s[56:57], s[56:57], 0                   // scale by bpe
s_add_u32 s[sgprSrdD+0], s[sgprSrdD+0], s56        // add lo to SRD
s_addc_u32 s[sgprSrdD+1], s[sgprSrdD+1], s57       // add hi to SRD

s_mul_hi_u32 s57, s[sgprWorkGroup2], s[sgprStrideCK] // CScale s[sgprWorkGroup2] by Stride
s_mul_i32 s56, s[sgprWorkGroup2], s[sgprStrideCK]  // CScale s[sgprWorkGroup2] by Stride
s_lshl_b64 s[56:57], s[56:57], 0                   // scale by bpe
s_add_u32 s[sgprSrdC+0], s[sgprSrdC+0], s56        // add lo to SRD
s_addc_u32 s[sgprSrdC+1], s[sgprSrdC+1], s57       // add hi to SRD
s_mul_hi_u32 s57, s[sgprWorkGroup2], s[sgprStrideDK] // Scale s[sgprWorkGroup2] by Stride
s_mul_i32 s56, s[sgprWorkGroup2], s[sgprStrideDK]  // Scale s[sgprWorkGroup2] by Stride
s_lshl_b64 s[56:57], s[56:57], 0                   // scale by bpe
s_add_u32 s[sgprSrdD+0], s[sgprSrdD+0], s56        // add lo to SRD
s_addc_u32 s[sgprSrdD+1], s[sgprSrdD+1], s57       // add hi to SRD


	;; [unrolled: 1-line block ×3, first 2 shown]
/* initC: remove C-tile 0-0 from pool */

/* initC: remove AB-tile 0-80 from pool */
v_accvgpr_write acc0, 0x0                          // initC
v_accvgpr_write acc1, 0x0                          // initC
v_accvgpr_write acc2, 0x0                          // initC
v_accvgpr_write acc3, 0x0                          // initC
v_accvgpr_write acc4, 0x0                          // initC
v_accvgpr_write acc5, 0x0                          // initC
v_accvgpr_write acc6, 0x0                          // initC
v_accvgpr_write acc7, 0x0                          // initC
v_accvgpr_write acc8, 0x0                          // initC
v_accvgpr_write acc9, 0x0                          // initC
v_accvgpr_write acc10, 0x0                         // initC
v_accvgpr_write acc11, 0x0                         // initC
v_accvgpr_write acc12, 0x0                         // initC
v_accvgpr_write acc13, 0x0                         // initC
v_accvgpr_write acc14, 0x0                         // initC
v_accvgpr_write acc15, 0x0                         // initC
v_accvgpr_write acc16, 0x0                         // initC
v_accvgpr_write acc17, 0x0                         // initC
v_accvgpr_write acc18, 0x0                         // initC
v_accvgpr_write acc19, 0x0                         // initC
v_accvgpr_write acc20, 0x0                         // initC
v_accvgpr_write acc21, 0x0                         // initC
v_accvgpr_write acc22, 0x0                         // initC
v_accvgpr_write acc23, 0x0                         // initC
v_accvgpr_write acc24, 0x0                         // initC
v_accvgpr_write acc25, 0x0                         // initC
v_accvgpr_write acc26, 0x0                         // initC
v_accvgpr_write acc27, 0x0                         // initC
v_accvgpr_write acc28, 0x0                         // initC
v_accvgpr_write acc29, 0x0                         // initC
v_accvgpr_write acc30, 0x0                         // initC
v_accvgpr_write acc31, 0x0                         // initC
v_accvgpr_write acc32, 0x0                         // initC
v_accvgpr_write acc33, 0x0                         // initC
v_accvgpr_write acc34, 0x0                         // initC
v_accvgpr_write acc35, 0x0                         // initC
v_accvgpr_write acc36, 0x0                         // initC
v_accvgpr_write acc37, 0x0                         // initC
v_accvgpr_write acc38, 0x0                         // initC
v_accvgpr_write acc39, 0x0                         // initC
v_accvgpr_write acc40, 0x0                         // initC
v_accvgpr_write acc41, 0x0                         // initC
v_accvgpr_write acc42, 0x0                         // initC
v_accvgpr_write acc43, 0x0                         // initC
v_accvgpr_write acc44, 0x0                         // initC
v_accvgpr_write acc45, 0x0                         // initC
v_accvgpr_write acc46, 0x0                         // initC
v_accvgpr_write acc47, 0x0                         // initC
v_accvgpr_write acc48, 0x0                         // initC
v_accvgpr_write acc49, 0x0                         // initC
v_accvgpr_write acc50, 0x0                         // initC
v_accvgpr_write acc51, 0x0                         // initC
v_accvgpr_write acc52, 0x0                         // initC
v_accvgpr_write acc53, 0x0                         // initC
v_accvgpr_write acc54, 0x0                         // initC
v_accvgpr_write acc55, 0x0                         // initC
v_accvgpr_write acc56, 0x0                         // initC
v_accvgpr_write acc57, 0x0                         // initC
v_accvgpr_write acc58, 0x0                         // initC
v_accvgpr_write acc59, 0x0                         // initC
v_accvgpr_write acc60, 0x0                         // initC
v_accvgpr_write acc61, 0x0                         // initC
v_accvgpr_write acc62, 0x0                         // initC
v_accvgpr_write acc63, 0x0                         // initC
v_accvgpr_write acc64, 0x0                         // initC
v_accvgpr_write acc65, 0x0                         // initC
v_accvgpr_write acc66, 0x0                         // initC
v_accvgpr_write acc67, 0x0                         // initC
v_accvgpr_write acc68, 0x0                         // initC
v_accvgpr_write acc69, 0x0                         // initC
v_accvgpr_write acc70, 0x0                         // initC
v_accvgpr_write acc71, 0x0                         // initC
v_accvgpr_write acc72, 0x0                         // initC
v_accvgpr_write acc73, 0x0                         // initC
v_accvgpr_write acc74, 0x0                         // initC
v_accvgpr_write acc75, 0x0                         // initC
v_accvgpr_write acc76, 0x0                         // initC
v_accvgpr_write acc77, 0x0                         // initC
v_accvgpr_write acc78, 0x0                         // initC
v_accvgpr_write acc79, 0x0                         // initC
v_accvgpr_write acc80, 0x0                         // initC
v_accvgpr_write acc81, 0x0                         // initC
v_accvgpr_write acc82, 0x0                         // initC
v_accvgpr_write acc83, 0x0                         // initC
v_accvgpr_write acc84, 0x0                         // initC
v_accvgpr_write acc85, 0x0                         // initC
v_accvgpr_write acc86, 0x0                         // initC
v_accvgpr_write acc87, 0x0                         // initC
v_accvgpr_write acc88, 0x0                         // initC
v_accvgpr_write acc89, 0x0                         // initC
v_accvgpr_write acc90, 0x0                         // initC
v_accvgpr_write acc91, 0x0                         // initC
v_accvgpr_write acc92, 0x0                         // initC
v_accvgpr_write acc93, 0x0                         // initC
v_accvgpr_write acc94, 0x0                         // initC
v_accvgpr_write acc95, 0x0                         // initC
v_accvgpr_write acc96, 0x0                         // initC
v_accvgpr_write acc97, 0x0                         // initC
v_accvgpr_write acc98, 0x0                         // initC
v_accvgpr_write acc99, 0x0                         // initC
v_accvgpr_write acc100, 0x0                        // initC
v_accvgpr_write acc101, 0x0                        // initC
v_accvgpr_write acc102, 0x0                        // initC
v_accvgpr_write acc103, 0x0                        // initC
v_accvgpr_write acc104, 0x0                        // initC
v_accvgpr_write acc105, 0x0                        // initC
v_accvgpr_write acc106, 0x0                        // initC
v_accvgpr_write acc107, 0x0                        // initC
v_accvgpr_write acc108, 0x0                        // initC
v_accvgpr_write acc109, 0x0                        // initC
v_accvgpr_write acc110, 0x0                        // initC
v_accvgpr_write acc111, 0x0                        // initC
v_accvgpr_write acc112, 0x0                        // initC
v_accvgpr_write acc113, 0x0                        // initC
v_accvgpr_write acc114, 0x0                        // initC
v_accvgpr_write acc115, 0x0                        // initC
v_accvgpr_write acc116, 0x0                        // initC
v_accvgpr_write acc117, 0x0                        // initC
v_accvgpr_write acc118, 0x0                        // initC
v_accvgpr_write acc119, 0x0                        // initC
v_accvgpr_write acc120, 0x0                        // initC
v_accvgpr_write acc121, 0x0                        // initC
v_accvgpr_write acc122, 0x0                        // initC
v_accvgpr_write acc123, 0x0                        // initC
v_accvgpr_write acc124, 0x0                        // initC
v_accvgpr_write acc125, 0x0                        // initC
v_accvgpr_write acc126, 0x0                        // initC
v_accvgpr_write acc127, 0x0                        // initC
v_accvgpr_write acc128, 0x0                        // initC
v_accvgpr_write acc129, 0x0                        // initC
v_accvgpr_write acc130, 0x0                        // initC
v_accvgpr_write acc131, 0x0                        // initC
v_accvgpr_write acc132, 0x0                        // initC
v_accvgpr_write acc133, 0x0                        // initC
v_accvgpr_write acc134, 0x0                        // initC
v_accvgpr_write acc135, 0x0                        // initC
v_accvgpr_write acc136, 0x0                        // initC
v_accvgpr_write acc137, 0x0                        // initC
v_accvgpr_write acc138, 0x0                        // initC
v_accvgpr_write acc139, 0x0                        // initC
v_accvgpr_write acc140, 0x0                        // initC
v_accvgpr_write acc141, 0x0                        // initC
v_accvgpr_write acc142, 0x0                        // initC
v_accvgpr_write acc143, 0x0                        // initC
v_accvgpr_write acc144, 0x0                        // initC
v_accvgpr_write acc145, 0x0                        // initC
v_accvgpr_write acc146, 0x0                        // initC
v_accvgpr_write acc147, 0x0                        // initC
v_accvgpr_write acc148, 0x0                        // initC
v_accvgpr_write acc149, 0x0                        // initC
v_accvgpr_write acc150, 0x0                        // initC
v_accvgpr_write acc151, 0x0                        // initC
v_accvgpr_write acc152, 0x0                        // initC
v_accvgpr_write acc153, 0x0                        // initC
v_accvgpr_write acc154, 0x0                        // initC
v_accvgpr_write acc155, 0x0                        // initC
v_accvgpr_write acc156, 0x0                        // initC
v_accvgpr_write acc157, 0x0                        // initC
v_accvgpr_write acc158, 0x0                        // initC
v_accvgpr_write acc159, 0x0                        // initC
v_accvgpr_write acc160, 0x0                        // initC
v_accvgpr_write acc161, 0x0                        // initC
v_accvgpr_write acc162, 0x0                        // initC
v_accvgpr_write acc163, 0x0                        // initC
v_accvgpr_write acc164, 0x0                        // initC
v_accvgpr_write acc165, 0x0                        // initC
v_accvgpr_write acc166, 0x0                        // initC
v_accvgpr_write acc167, 0x0                        // initC
v_accvgpr_write acc168, 0x0                        // initC
v_accvgpr_write acc169, 0x0                        // initC
v_accvgpr_write acc170, 0x0                        // initC
v_accvgpr_write acc171, 0x0                        // initC
v_accvgpr_write acc172, 0x0                        // initC
v_accvgpr_write acc173, 0x0                        // initC
v_accvgpr_write acc174, 0x0                        // initC
v_accvgpr_write acc175, 0x0                        // initC
v_accvgpr_write acc176, 0x0                        // initC
v_accvgpr_write acc177, 0x0                        // initC
v_accvgpr_write acc178, 0x0                        // initC
v_accvgpr_write acc179, 0x0                        // initC
v_accvgpr_write acc180, 0x0                        // initC
v_accvgpr_write acc181, 0x0                        // initC
v_accvgpr_write acc182, 0x0                        // initC
v_accvgpr_write acc183, 0x0                        // initC
v_accvgpr_write acc184, 0x0                        // initC
v_accvgpr_write acc185, 0x0                        // initC
v_accvgpr_write acc186, 0x0                        // initC
v_accvgpr_write acc187, 0x0                        // initC
v_accvgpr_write acc188, 0x0                        // initC
v_accvgpr_write acc189, 0x0                        // initC
v_accvgpr_write acc190, 0x0                        // initC
v_accvgpr_write acc191, 0x0                        // initC
v_accvgpr_write acc192, 0x0                        // initC
v_accvgpr_write acc193, 0x0                        // initC
v_accvgpr_write acc194, 0x0                        // initC
v_accvgpr_write acc195, 0x0                        // initC
v_accvgpr_write acc196, 0x0                        // initC
v_accvgpr_write acc197, 0x0                        // initC
v_accvgpr_write acc198, 0x0                        // initC
v_accvgpr_write acc199, 0x0                        // initC
v_accvgpr_write acc200, 0x0                        // initC
v_accvgpr_write acc201, 0x0                        // initC
v_accvgpr_write acc202, 0x0                        // initC
v_accvgpr_write acc203, 0x0                        // initC
v_accvgpr_write acc204, 0x0                        // initC
v_accvgpr_write acc205, 0x0                        // initC
v_accvgpr_write acc206, 0x0                        // initC
v_accvgpr_write acc207, 0x0                        // initC
v_accvgpr_write acc208, 0x0                        // initC
v_accvgpr_write acc209, 0x0                        // initC
v_accvgpr_write acc210, 0x0                        // initC
v_accvgpr_write acc211, 0x0                        // initC
v_accvgpr_write acc212, 0x0                        // initC
v_accvgpr_write acc213, 0x0                        // initC
v_accvgpr_write acc214, 0x0                        // initC
v_accvgpr_write acc215, 0x0                        // initC
v_accvgpr_write acc216, 0x0                        // initC
v_accvgpr_write acc217, 0x0                        // initC
v_accvgpr_write acc218, 0x0                        // initC
v_accvgpr_write acc219, 0x0                        // initC
v_accvgpr_write acc220, 0x0                        // initC
v_accvgpr_write acc221, 0x0                        // initC
v_accvgpr_write acc222, 0x0                        // initC
v_accvgpr_write acc223, 0x0                        // initC
v_accvgpr_write acc224, 0x0                        // initC
v_accvgpr_write acc225, 0x0                        // initC
v_accvgpr_write acc226, 0x0                        // initC
v_accvgpr_write acc227, 0x0                        // initC
v_accvgpr_write acc228, 0x0                        // initC
v_accvgpr_write acc229, 0x0                        // initC
v_accvgpr_write acc230, 0x0                        // initC
v_accvgpr_write acc231, 0x0                        // initC
v_accvgpr_write acc232, 0x0                        // initC
v_accvgpr_write acc233, 0x0                        // initC
v_accvgpr_write acc234, 0x0                        // initC
v_accvgpr_write acc235, 0x0                        // initC
v_accvgpr_write acc236, 0x0                        // initC
v_accvgpr_write acc237, 0x0                        // initC
v_accvgpr_write acc238, 0x0                        // initC
v_accvgpr_write acc239, 0x0                        // initC
v_accvgpr_write acc240, 0x0                        // initC
v_accvgpr_write acc241, 0x0                        // initC
v_accvgpr_write acc242, 0x0                        // initC
v_accvgpr_write acc243, 0x0                        // initC
v_accvgpr_write acc244, 0x0                        // initC
v_accvgpr_write acc245, 0x0                        // initC
v_accvgpr_write acc246, 0x0                        // initC
v_accvgpr_write acc247, 0x0                        // initC
v_accvgpr_write acc248, 0x0                        // initC
v_accvgpr_write acc249, 0x0                        // initC
v_accvgpr_write acc250, 0x0                        // initC
v_accvgpr_write acc251, 0x0                        // initC
v_accvgpr_write acc252, 0x0                        // initC
v_accvgpr_write acc253, 0x0                        // initC
v_accvgpr_write acc254, 0x0                        // initC
v_accvgpr_write acc255, 0x0                        // initC

s_cmp_eq_u32 s[sgprLoopCounterL], 0                // at last iteration?

/* after InitC, skip to end of prefetch last iter if numIter==0 */
s_cbranch_scc0 label_NoBranch_11                   // Only branch on scc1
s_getpc_B64 s[56:57]                               // addr of next instr
s_add_i32 s58, PrefetchGlobalLastIterEnd_5, 0x4    // target branch offset
s_add_u32 s56, s56, s58                            // add target branch offset
s_addc_u32 s57, s57, 0                             // add high and carry
s_setpc_b64 s[56:57]                               // branch to PrefetchGlobalLastIterEnd_5
label_NoBranch_11:

s_waitcnt vmcnt(0)                                 // lgkmcnt=-1 vmcnt=0 8wait for global read


/* local write a */
_ds_store_b128 v[vgprLocalWriteAddrA], v[vgprG2LA+0:vgprG2LA+0+3] offset:0 // lwoA_0_0_0_0 = (0*LSCA) + (0*LSPA)(*MT0I+PAD) = 0
_ds_store_b128 v[vgprLocalWriteAddrA], v[vgprG2LA+4:vgprG2LA+4+3] offset:128 // lwoA_1_0_0_0 = (1*LSCA) + (0*LSPA)(*MT0I+PAD) = 128
_ds_store_b128 v[vgprLocalWriteAddrA], v[vgprG2LA+8:vgprG2LA+8+3] offset:8192 // lwoA_0_0_1_0 = (0*LSCA) + (1*LSPA)(*MT0I+PAD) = 8192
_ds_store_b128 v[vgprLocalWriteAddrA], v[vgprG2LA+12:vgprG2LA+12+3] offset:8320 // lwoA_1_0_1_0 = (1*LSCA) + (1*LSPA)(*MT0I+PAD) = 8320

/* local write b */
_ds_store_b128 v[vgprLocalWriteAddrB], v[vgprG2LB+0:vgprG2LB+0+3] offset:0 // lwoB_0_0_0_0 = (0*LSCB)*(MT1J+PAD) + (0*LSPB) = 0
_ds_store_b128 v[vgprLocalWriteAddrB], v[vgprG2LB+4:vgprG2LB+4+3] offset:4608 // lwoB_0_0_1_0 = (0*LSCB)*(MT1J+PAD) + (1*LSPB) = 4608
_ds_store_b128 v[vgprLocalWriteAddrB], v[vgprG2LB+8:vgprG2LB+8+3] offset:9216 // lwoB_0_0_2_0 = (0*LSCB)*(MT1J+PAD) + (2*LSPB) = 9216
_ds_store_b128 v[vgprLocalWriteAddrB], v[vgprG2LB+12:vgprG2LB+12+3] offset:13824 // lwoB_0_0_3_0 = (0*LSCB)*(MT1J+PAD) + (3*LSPB) = 13824


/* local write swap a */



/* local write swap b */


	;; [unrolled: 1-line block ×4, first 2 shown]
s_cmp_eq_u32 s[sgprLoopCounterL] 0x1               // PGR=2 but only 1 loop
s_cbranch_scc1 label_0012                          // PGR=2 but only 1 loop


_buffer_load_b128 v[vgprG2LA+0:vgprG2LA+0+3], v[vgprGlobalReadOffsetA+0], s[sgprSrdA:sgprSrdA+3], 0, offen offset:0 // G -> Reg 0_0_0_0
_buffer_load_b128 v[vgprG2LA+4:vgprG2LA+4+3], v[vgprGlobalReadOffsetA+1], s[sgprSrdA:sgprSrdA+3], 0, offen offset:0 // G -> Reg 1_0_0_0
_buffer_load_b128 v[vgprG2LA+8:vgprG2LA+8+3], v[vgprGlobalReadOffsetA+2], s[sgprSrdA:sgprSrdA+3], 0, offen offset:0 // G -> Reg 0_0_1_0
_buffer_load_b128 v[vgprG2LA+12:vgprG2LA+12+3], v[vgprGlobalReadOffsetA+3], s[sgprSrdA:sgprSrdA+3], 0, offen offset:0 // G -> Reg 1_0_1_0


_buffer_load_b128 v[vgprG2LB+0:vgprG2LB+0+3], v[vgprGlobalReadOffsetB+0], s[sgprSrdB:sgprSrdB+3], 0, offen offset:0 // G -> Reg 0_0_0_0
_buffer_load_b128 v[vgprG2LB+4:vgprG2LB+4+3], v[vgprGlobalReadOffsetB+1], s[sgprSrdB:sgprSrdB+3], 0, offen offset:0 // G -> Reg 0_0_1_0
_buffer_load_b128 v[vgprG2LB+8:vgprG2LB+8+3], v[vgprGlobalReadOffsetB+2], s[sgprSrdB:sgprSrdB+3], 0, offen offset:0 // G -> Reg 0_0_2_0
_buffer_load_b128 v[vgprG2LB+12:vgprG2LB+12+3], v[vgprGlobalReadOffsetB+3], s[sgprSrdB:sgprSrdB+3], 0, offen offset:0 // G -> Reg 0_0_3_0

label_0012:                                        // 

s_waitcnt lgkmcnt(0)                               // lgkmcnt=0 vmcnt=-10prefetch wait for local write

// Skip force waitcnt0
s_barrier //


/* local read prefetch a */

_ds_load_u8 v[vgprValuA_X0_I0+0], v[vgprLocalReadAddrA] offset:0 // L -> Reg lro=0 swapByteOffset=0 ti=128 vIdx=0 rIdx=0 oIdx=0 buffer=0 iui=0
_ds_load_u8 v125, v[vgprLocalReadAddrA] offset:256 // L -> Reg lro=0 swapByteOffset=0 ti=128 vIdx=0 rIdx=1 oIdx=0 buffer=0 iui=0
_ds_load_u8_d16_hi v126, v[vgprLocalReadAddrA] offset:512 // L -> Reg lro=0 swapByteOffset=0 ti=128 vIdx=0 rIdx=2 oIdx=0 buffer=0 iui=0
_ds_load_u8_d16_hi v127, v[vgprLocalReadAddrA] offset:768 // L -> Reg lro=0 swapByteOffset=0 ti=128 vIdx=0 rIdx=3 oIdx=0 buffer=0 iui=0
_ds_load_u8 v[vgprValuA_X0_I0+1], v[vgprLocalReadAddrA] offset:1024 // L -> Reg lro=0 swapByteOffset=0 ti=128 vIdx=0 rIdx=4 oIdx=0 buffer=0 iui=0
_ds_load_u8 v128, v[vgprLocalReadAddrA] offset:1280 // L -> Reg lro=0 swapByteOffset=0 ti=128 vIdx=0 rIdx=5 oIdx=0 buffer=0 iui=0
_ds_load_u8_d16_hi v129, v[vgprLocalReadAddrA] offset:1536 // L -> Reg lro=0 swapByteOffset=0 ti=128 vIdx=0 rIdx=6 oIdx=0 buffer=0 iui=0
_ds_load_u8_d16_hi v130, v[vgprLocalReadAddrA] offset:1792 // L -> Reg lro=0 swapByteOffset=0 ti=128 vIdx=0 rIdx=7 oIdx=0 buffer=0 iui=0
	;; [unrolled: 4-line block ×4, first 2 shown]


/* local read prefetch b */

_ds_load_b128 v[vgprValuB_X0_I0+0:vgprValuB_X0_I0+0+3], v[vgprLocalReadAddrB] offset:0 // L -> Reg lro=0 swapByteOffset=0 ti=32 vIdx=0 rIdx=0 oIdx=0 buffer=0 iui=0
_ds_load_b128 v[vgprValuB_X0_I0+4:vgprValuB_X0_I0+4+3], v[vgprLocalReadAddrB] offset:2304 // L -> Reg lro=0 swapByteOffset=0 ti=32 vIdx=1 rIdx=0 oIdx=0 buffer=0 iui=0
	;; [unrolled: 1-line block ×8, first 2 shown]


/* local read inc a */

/* N/A, lro->2048 */
/* self.localReadDoCntA 1 self.localReadDoCntB 1 */


/* local read inc b */

/* N/A, lro->32 */
/* self.localReadDoCntA 1 self.localReadDoCntB 1 */


	;; [unrolled: 1-line block ×3, first 2 shown]
/******************************************/
/* Unrolled Loop(s) - Begin               */
/******************************************/

openLoopL_13:
s_cmp_eq_u32 s[sgprLoopCounterL], 0x1              // LoopCounterL < EndCounter
s_cbranch_scc1 label_0014                          // PGR=2 but only 1 loop, toPGR1
s_cmp_le_u32 s[sgprLoopCounterL], 0x2              // LoopCounterL < EndCounter
s_cbranch_scc1 LoopEndL_evenexit_4                 // do not enter LoopL
LoopBeginL_1:


/******************************************/
/* Unrolled Loop 1/2 - Begin              */
/******************************************/

label_0015: // LoopCopy1 


/* Begin Each Unroll: Check VGPR.checkin for INT8 LW */


	;; [unrolled: 1-line block ×3, first 2 shown]
/* iter 0 */

/*  grEndMfmaIndex:6, lwStartMfmaIndex:37, lwEndMfmaIndex:47  */
/*  numMfmaForLR:15, barrierMfmaIndex:48, LocalWritePerMfma:0.730 */
/*  mfmaIndex:0  */
s_waitcnt lgkmcnt(0)                               // lgkmcnt=0 vmcnt=-1wait for prior local read local write old=0, new=0 newLW=0 newLR=0
/* pack scheduling: packAIdx:6, packBIdx:0 */
_v_lshl_or_b32 v[vgprValuA_X0_I0+0], v125, 0x8, v[vgprValuA_X0_I0+0] // pack two int8 Vgpr to one half Vgpr
_v_lshl_or_b32 v126, v127, 0x8, v126               // pack two int8 Vgpr to one half Vgpr
v_or_b32 v[vgprValuA_X0_I0+0], v[vgprValuA_X0_I0+0], v126 // pack two half Vgpr to one Vgpr
_v_lshl_or_b32 v[vgprValuA_X0_I0+1], v128, 0x8, v[vgprValuA_X0_I0+1] // pack two int8 Vgpr to one half Vgpr
_v_lshl_or_b32 v129, v130, 0x8, v129               // pack two int8 Vgpr to one half Vgpr
v_or_b32 v[vgprValuA_X0_I0+1], v[vgprValuA_X0_I0+1], v129 // pack two half Vgpr to one Vgpr
	;; [unrolled: 3-line block ×4, first 2 shown]
v_mfma_f32_32x32x16_fp8_fp8 a[0+0:15+0], v[vgprValuA_X0_I0+0+0+0:vgprValuA_X0_I0+0+0+0+1], v[vgprValuB_X0_I0+0+0+0:vgprValuB_X0_I0+0+0+0+1], a[0:15]
/*  mfmaIndex:1  */
_ds_load_u8 v[vgprValuA_X1_I0+0], v[vgprLocalReadAddrA] offset:2048 // L -> Reg lro=2048 swapByteOffset=0 ti=128 vIdx=0 rIdx=0 oIdx=0 buffer=1 iui=0
_ds_load_u8 v137, v[vgprLocalReadAddrA] offset:2304 // L -> Reg lro=2048 swapByteOffset=0 ti=128 vIdx=0 rIdx=1 oIdx=0 buffer=1 iui=0
_ds_load_u8_d16_hi v138, v[vgprLocalReadAddrA] offset:2560 // L -> Reg lro=2048 swapByteOffset=0 ti=128 vIdx=0 rIdx=2 oIdx=0 buffer=1 iui=0

/* global read inc A loopL */
s_cmp_eq_u32 s[sgprLoopCounterL], s[sgprStaggerUIter] // Is this the wrapIter?
s_cselect_b32 s56, s[sgprWrapUA+0], s[sgprGlobalReadIncsA+0] // incLower <- ?
s_cselect_b32 s57, s[sgprWrapUA+1], 0              // incUpper <- ?
v_mfma_f32_32x32x16_fp8_fp8 a[16+0:31+0], v[vgprValuA_X0_I0+2+0+0:vgprValuA_X0_I0+2+0+0+1], v[vgprValuB_X0_I0+0+0+0:vgprValuB_X0_I0+0+0+0+1], a[16:31]
/*  mfmaIndex:2  */
_ds_load_u8_d16_hi v139, v[vgprLocalReadAddrA] offset:2816 // L -> Reg lro=2048 swapByteOffset=0 ti=128 vIdx=0 rIdx=3 oIdx=0 buffer=1 iui=0
_ds_load_u8 v[vgprValuA_X1_I0+1], v[vgprLocalReadAddrA] offset:3072 // L -> Reg lro=2048 swapByteOffset=0 ti=128 vIdx=0 rIdx=4 oIdx=0 buffer=1 iui=0
_ds_load_u8 v140, v[vgprLocalReadAddrA] offset:3328 // L -> Reg lro=2048 swapByteOffset=0 ti=128 vIdx=0 rIdx=5 oIdx=0 buffer=1 iui=0
s_add_u32 s[sgprSrdA+0], s[sgprSrdA+0], s56        // gra SRD += inc(lower)
s_addc_u32  s[sgprSrdA+1], s[sgprSrdA+1], s57      // gra SRD += inc(upper)
s_sub_u32 s[sgprShadowLimitA+0], s[sgprShadowLimitA+0], s56 // limit -= inc)
v_mfma_f32_32x32x16_fp8_fp8 a[48+0:63+0], v[vgprValuA_X0_I0+2+0+0:vgprValuA_X0_I0+2+0+0+1], v[vgprValuB_X0_I0+4+0+0:vgprValuB_X0_I0+4+0+0+1], a[48:63]
/*  mfmaIndex:3  */
_ds_load_u8_d16_hi v141, v[vgprLocalReadAddrA] offset:3584 // L -> Reg lro=2048 swapByteOffset=0 ti=128 vIdx=0 rIdx=6 oIdx=0 buffer=1 iui=0
_ds_load_u8_d16_hi v142, v[vgprLocalReadAddrA] offset:3840 // L -> Reg lro=2048 swapByteOffset=0 ti=128 vIdx=0 rIdx=7 oIdx=0 buffer=1 iui=0
s_subb_u32 s[sgprShadowLimitA+1], s[sgprShadowLimitA+1], s57 // limit -= inc)
s_cmp_eq_u32 s[sgprShadowLimitA+1], 0              // are we within 2^32?
s_cselect_b32 s[sgprSrdA+2], s[sgprShadowLimitA+0], BufferLimitA // Move shadow to real if we are within 2^32
v_mfma_f32_32x32x16_fp8_fp8 a[32+0:47+0], v[vgprValuA_X0_I0+0+0+0:vgprValuA_X0_I0+0+0+0+1], v[vgprValuB_X0_I0+4+0+0:vgprValuB_X0_I0+4+0+0+1], a[32:47]
/*  mfmaIndex:4  */
_ds_load_b128 v[vgprValuB_X2_I0+0:vgprValuB_X2_I0+0+3], v[vgprLocalReadAddrB] offset:32 // L -> Reg lro=32 swapByteOffset=0 ti=32 vIdx=0 rIdx=0 oIdx=0 buffer=2 iui=0
_ds_load_u8 v[vgprValuA_X1_I0+2], v[vgprLocalReadAddrA] offset:2176 // L -> Reg lro=2048 swapByteOffset=0 ti=128 vIdx=1 rIdx=0 oIdx=0 buffer=1 iui=0

/* global read inc B loopL */
s_cmp_eq_u32 s[sgprLoopCounterL], s[sgprStaggerUIter] // Is this the wrapIter?
s_cselect_b32 s56, s[sgprWrapUB+0], s[sgprGlobalReadIncsB+0] // incLower <- ?
s_cselect_b32 s57, s[sgprWrapUB+1], 0              // incUpper <- ?
v_mfma_f32_32x32x16_fp8_fp8 a[64+0:79+0], v[vgprValuA_X0_I0+0+0+0:vgprValuA_X0_I0+0+0+0+1], v[vgprValuB_X0_I0+8+0+0:vgprValuB_X0_I0+8+0+0+1], a[64:79]
/*  mfmaIndex:5  */
_ds_load_u8 v143, v[vgprLocalReadAddrA] offset:2432 // L -> Reg lro=2048 swapByteOffset=0 ti=128 vIdx=1 rIdx=1 oIdx=0 buffer=1 iui=0
_ds_load_u8_d16_hi v144, v[vgprLocalReadAddrA] offset:2688 // L -> Reg lro=2048 swapByteOffset=0 ti=128 vIdx=1 rIdx=2 oIdx=0 buffer=1 iui=0
_ds_load_u8_d16_hi v145, v[vgprLocalReadAddrA] offset:2944 // L -> Reg lro=2048 swapByteOffset=0 ti=128 vIdx=1 rIdx=3 oIdx=0 buffer=1 iui=0
s_add_u32 s[sgprSrdB+0], s[sgprSrdB+0], s56        // gra SRD += inc(lower)
s_addc_u32  s[sgprSrdB+1], s[sgprSrdB+1], s57      // gra SRD += inc(upper)
s_sub_u32 s[sgprShadowLimitB+0], s[sgprShadowLimitB+0], s56 // limit -= inc)
v_mfma_f32_32x32x16_fp8_fp8 a[80+0:95+0], v[vgprValuA_X0_I0+2+0+0:vgprValuA_X0_I0+2+0+0+1], v[vgprValuB_X0_I0+8+0+0:vgprValuB_X0_I0+8+0+0+1], a[80:95]
/*  mfmaIndex:6  */
_ds_load_u8 v[vgprValuA_X1_I0+3], v[vgprLocalReadAddrA] offset:3200 // L -> Reg lro=2048 swapByteOffset=0 ti=128 vIdx=1 rIdx=4 oIdx=0 buffer=1 iui=0
_ds_load_u8 v146, v[vgprLocalReadAddrA] offset:3456 // L -> Reg lro=2048 swapByteOffset=0 ti=128 vIdx=1 rIdx=5 oIdx=0 buffer=1 iui=0
_ds_load_u8_d16_hi v147, v[vgprLocalReadAddrA] offset:3712 // L -> Reg lro=2048 swapByteOffset=0 ti=128 vIdx=1 rIdx=6 oIdx=0 buffer=1 iui=0
s_subb_u32 s[sgprShadowLimitB+1], s[sgprShadowLimitB+1], s57 // limit -= inc)
s_cmp_eq_u32 s[sgprShadowLimitB+1], 0              // are we within 2^32?
s_cselect_b32 s[sgprSrdB+2], s[sgprShadowLimitB+0], BufferLimitB // Move shadow to real if we are within 2^32
v_mfma_f32_32x32x16_fp8_fp8 a[112+0:127+0], v[vgprValuA_X0_I0+2+0+0:vgprValuA_X0_I0+2+0+0+1], v[vgprValuB_X0_I0+12+0+0:vgprValuB_X0_I0+12+0+0+1], a[112:127]
/*  mfmaIndex:7  */
_ds_load_u8_d16_hi v148, v[vgprLocalReadAddrA] offset:3968 // L -> Reg lro=2048 swapByteOffset=0 ti=128 vIdx=1 rIdx=7 oIdx=0 buffer=1 iui=0
_ds_load_b128 v[vgprValuB_X2_I0+4:vgprValuB_X2_I0+4+3], v[vgprLocalReadAddrB] offset:2336 // L -> Reg lro=32 swapByteOffset=0 ti=32 vIdx=1 rIdx=0 oIdx=0 buffer=2 iui=0
v_mfma_f32_32x32x16_fp8_fp8 a[96+0:111+0], v[vgprValuA_X0_I0+0+0+0:vgprValuA_X0_I0+0+0+0+1], v[vgprValuB_X0_I0+12+0+0:vgprValuB_X0_I0+12+0+0+1], a[96:111]
/*  mfmaIndex:8  */
_ds_load_b128 v[vgprValuB_X2_I0+8:vgprValuB_X2_I0+8+3], v[vgprLocalReadAddrB] offset:4640 // L -> Reg lro=32 swapByteOffset=0 ti=32 vIdx=2 rIdx=0 oIdx=0 buffer=2 iui=0
_ds_load_b128 v[vgprValuB_X2_I0+12:vgprValuB_X2_I0+12+3], v[vgprLocalReadAddrB] offset:6944 // L -> Reg lro=32 swapByteOffset=0 ti=32 vIdx=3 rIdx=0 oIdx=0 buffer=2 iui=0
v_mfma_f32_32x32x16_fp8_fp8 a[128+0:143+0], v[vgprValuA_X0_I0+0+0+0:vgprValuA_X0_I0+0+0+0+1], v[vgprValuB_X0_I0+16+0+0:vgprValuB_X0_I0+16+0+0+1], a[128:143]
/*  mfmaIndex:9  */
_ds_load_b128 v[vgprValuB_X2_I0+16:vgprValuB_X2_I0+16+3], v[vgprLocalReadAddrB] offset:9248 // L -> Reg lro=32 swapByteOffset=0 ti=32 vIdx=4 rIdx=0 oIdx=0 buffer=2 iui=0
	;; [unrolled: 4-line block ×3, first 2 shown]
v_mfma_f32_32x32x16_fp8_fp8 a[176+0:191+0], v[vgprValuA_X0_I0+2+0+0:vgprValuA_X0_I0+2+0+0+1], v[vgprValuB_X0_I0+20+0+0:vgprValuB_X0_I0+20+0+0+1], a[176:191]
/*  mfmaIndex:11  */
_ds_load_b128 v[vgprValuB_X2_I0+28:vgprValuB_X2_I0+28+3], v[vgprLocalReadAddrB] offset:16160 // L -> Reg lro=32 swapByteOffset=0 ti=32 vIdx=7 rIdx=0 oIdx=0 buffer=2 iui=0
/* localReadsVacancy: latencyLeft 2 */
_ds_load_u8 v[vgprValuA_X2_I0+0], v[vgprLocalReadAddrA] offset:8192 // L -> Reg lro=8192 swapByteOffset=0 ti=128 vIdx=0 rIdx=0 oIdx=0 buffer=2 iui=0
v_mfma_f32_32x32x16_fp8_fp8 a[160+0:175+0], v[vgprValuA_X0_I0+0+0+0:vgprValuA_X0_I0+0+0+0+1], v[vgprValuB_X0_I0+20+0+0:vgprValuB_X0_I0+20+0+0+1], a[160:175]
/*  mfmaIndex:12  */
/* localReadsVacancy: latencyLeft 6 */
_ds_load_u8 v[vgprValuA_X2_I0+1], v[vgprLocalReadAddrA] offset:9216 // L -> Reg lro=8192 swapByteOffset=0 ti=128 vIdx=0 rIdx=4 oIdx=0 buffer=2 iui=0
_ds_load_u8 v[vgprValuA_X2_I0+2], v[vgprLocalReadAddrA] offset:8320 // L -> Reg lro=8192 swapByteOffset=0 ti=128 vIdx=1 rIdx=0 oIdx=0 buffer=2 iui=0
	;; [unrolled: 1-line block ×3, first 2 shown]
v_mfma_f32_32x32x16_fp8_fp8 a[192+0:207+0], v[vgprValuA_X0_I0+0+0+0:vgprValuA_X0_I0+0+0+0+1], v[vgprValuB_X0_I0+24+0+0:vgprValuB_X0_I0+24+0+0+1], a[192:207]
/*  mfmaIndex:13  */
/* localReadsVacancy: latencyLeft 6 */
_ds_load_u8 v[vgprValuA_X3_I0+0], v[vgprLocalReadAddrA] offset:10240 // L -> Reg lro=10240 swapByteOffset=0 ti=128 vIdx=0 rIdx=0 oIdx=0 buffer=3 iui=0
_ds_load_u8 v[vgprValuA_X3_I0+1], v[vgprLocalReadAddrA] offset:11264 // L -> Reg lro=10240 swapByteOffset=0 ti=128 vIdx=0 rIdx=4 oIdx=0 buffer=3 iui=0
	;; [unrolled: 1-line block ×3, first 2 shown]
v_mfma_f32_32x32x16_fp8_fp8 a[208+0:223+0], v[vgprValuA_X0_I0+2+0+0:vgprValuA_X0_I0+2+0+0+1], v[vgprValuB_X0_I0+24+0+0:vgprValuB_X0_I0+24+0+0+1], a[208:223]
/*  mfmaIndex:14  */
/* localReadsVacancy: latencyLeft 6 */
_ds_load_u8 v[vgprValuA_X3_I0+3], v[vgprLocalReadAddrA] offset:11392 // L -> Reg lro=10240 swapByteOffset=0 ti=128 vIdx=1 rIdx=4 oIdx=0 buffer=3 iui=0
v_mfma_f32_32x32x16_fp8_fp8 a[240+0:255+0], v[vgprValuA_X0_I0+2+0+0:vgprValuA_X0_I0+2+0+0+1], v[vgprValuB_X0_I0+28+0+0:vgprValuB_X0_I0+28+0+0+1], a[240:255]
/*  mfmaIndex:15  */
/* localReadsVacancy: latencyLeft 6 */
v_mfma_f32_32x32x16_fp8_fp8 a[224+0:239+0], v[vgprValuA_X0_I0+0+0+0:vgprValuA_X0_I0+0+0+0+1], v[vgprValuB_X0_I0+28+0+0:vgprValuB_X0_I0+28+0+0+1], a[224:239]
/* numPrefetchIter=0 */
/* dataAtIterA=-1 numReadsIterA=1 skipReadsIterA=1 readsPerIterA=16 */
/* dataAtIterB=-1 numReadsIterB=1 skipReadsIterB=1 readsPerIterB=8 */


/* iter 1 */

/*  grEndMfmaIndex:6, lwStartMfmaIndex:37, lwEndMfmaIndex:47  */
/*  numMfmaForLR:15, barrierMfmaIndex:48, LocalWritePerMfma:0.730 */
/*  mfmaIndex:16  */
_ds_load_u8 v125, v[vgprLocalReadAddrA] offset:8448 // L -> Reg lro=8192 swapByteOffset=0 ti=128 vIdx=0 rIdx=1 oIdx=0 buffer=2 iui=0
_ds_load_u8_d16_hi v126, v[vgprLocalReadAddrA] offset:8704 // L -> Reg lro=8192 swapByteOffset=0 ti=128 vIdx=0 rIdx=2 oIdx=0 buffer=2 iui=0
_ds_load_u8_d16_hi v127, v[vgprLocalReadAddrA] offset:8960 // L -> Reg lro=8192 swapByteOffset=0 ti=128 vIdx=0 rIdx=3 oIdx=0 buffer=2 iui=0
s_waitcnt lgkmcnt(11)                              // lgkmcnt=0 vmcnt=-1wait for prior local read local write old=4, new=7 newLW=0 newLR=3
/* pack scheduling: packAIdx:6, packBIdx:0 */
_v_lshl_or_b32 v[vgprValuA_X1_I0+0], v137, 0x8, v[vgprValuA_X1_I0+0] // pack two int8 Vgpr to one half Vgpr
_v_lshl_or_b32 v138, v139, 0x8, v138               // pack two int8 Vgpr to one half Vgpr
v_or_b32 v[vgprValuA_X1_I0+0], v[vgprValuA_X1_I0+0], v138 // pack two half Vgpr to one Vgpr
_v_lshl_or_b32 v[vgprValuA_X1_I0+1], v140, 0x8, v[vgprValuA_X1_I0+1] // pack two int8 Vgpr to one half Vgpr
_v_lshl_or_b32 v141, v142, 0x8, v141               // pack two int8 Vgpr to one half Vgpr
v_or_b32 v[vgprValuA_X1_I0+1], v[vgprValuA_X1_I0+1], v141 // pack two half Vgpr to one Vgpr
_v_lshl_or_b32 v[vgprValuA_X1_I0+2], v143, 0x8, v[vgprValuA_X1_I0+2] // pack two int8 Vgpr to one half Vgpr
_v_lshl_or_b32 v144, v145, 0x8, v144               // pack two int8 Vgpr to one half Vgpr
v_or_b32 v[vgprValuA_X1_I0+2], v[vgprValuA_X1_I0+2], v144 // pack two half Vgpr to one Vgpr
_v_lshl_or_b32 v[vgprValuA_X1_I0+3], v146, 0x8, v[vgprValuA_X1_I0+3] // pack two int8 Vgpr to one half Vgpr
_v_lshl_or_b32 v147, v148, 0x8, v147               // pack two int8 Vgpr to one half Vgpr
v_or_b32 v[vgprValuA_X1_I0+3], v[vgprValuA_X1_I0+3], v147 // pack two half Vgpr to one Vgpr
v_mfma_f32_32x32x16_fp8_fp8 a[0+0:15+0], v[vgprValuA_X1_I0+0+0+0:vgprValuA_X1_I0+0+0+0+1], v[vgprValuB_X0_I0+0+2+0:vgprValuB_X0_I0+0+2+0+1], a[0:15]
/*  mfmaIndex:17  */
_ds_load_u8 v128, v[vgprLocalReadAddrA] offset:9472 // L -> Reg lro=8192 swapByteOffset=0 ti=128 vIdx=0 rIdx=5 oIdx=0 buffer=2 iui=0
_ds_load_u8_d16_hi v129, v[vgprLocalReadAddrA] offset:9728 // L -> Reg lro=8192 swapByteOffset=0 ti=128 vIdx=0 rIdx=6 oIdx=0 buffer=2 iui=0
_ds_load_u8_d16_hi v130, v[vgprLocalReadAddrA] offset:9984 // L -> Reg lro=8192 swapByteOffset=0 ti=128 vIdx=0 rIdx=7 oIdx=0 buffer=2 iui=0
v_mfma_f32_32x32x16_fp8_fp8 a[16+0:31+0], v[vgprValuA_X1_I0+2+0+0:vgprValuA_X1_I0+2+0+0+1], v[vgprValuB_X0_I0+0+2+0:vgprValuB_X0_I0+0+2+0+1], a[16:31]
/*  mfmaIndex:18  */
_ds_load_u8 v131, v[vgprLocalReadAddrA] offset:8576 // L -> Reg lro=8192 swapByteOffset=0 ti=128 vIdx=1 rIdx=1 oIdx=0 buffer=2 iui=0
_ds_load_u8_d16_hi v132, v[vgprLocalReadAddrA] offset:8832 // L -> Reg lro=8192 swapByteOffset=0 ti=128 vIdx=1 rIdx=2 oIdx=0 buffer=2 iui=0
_ds_load_u8_d16_hi v133, v[vgprLocalReadAddrA] offset:9088 // L -> Reg lro=8192 swapByteOffset=0 ti=128 vIdx=1 rIdx=3 oIdx=0 buffer=2 iui=0
	;; [unrolled: 5-line block ×3, first 2 shown]
v_mfma_f32_32x32x16_fp8_fp8 a[32+0:47+0], v[vgprValuA_X1_I0+0+0+0:vgprValuA_X1_I0+0+0+0+1], v[vgprValuB_X0_I0+4+2+0:vgprValuB_X0_I0+4+2+0+1], a[32:47]
/*  mfmaIndex:20  */
/* localReadsVacancy: latencyLeft 6 */
v_mfma_f32_32x32x16_fp8_fp8 a[64+0:79+0], v[vgprValuA_X1_I0+0+0+0:vgprValuA_X1_I0+0+0+0+1], v[vgprValuB_X0_I0+8+2+0:vgprValuB_X0_I0+8+2+0+1], a[64:79]
/*  mfmaIndex:21  */
/* localReadsVacancy: latencyLeft 6 */
	;; [unrolled: 3-line block ×12, first 2 shown]
v_mfma_f32_32x32x16_fp8_fp8 a[224+0:239+0], v[vgprValuA_X1_I0+0+0+0:vgprValuA_X1_I0+0+0+0+1], v[vgprValuB_X0_I0+28+2+0:vgprValuB_X0_I0+28+2+0+1], a[224:239]
/* numPrefetchIter=0 */
/* dataAtIterA=0 numReadsIterA=2 skipReadsIterA=1 readsPerIterA=16 */
/* dataAtIterB=-1 numReadsIterB=1 skipReadsIterB=0 readsPerIterB=8 */


/* iter 2 (reset local read pointers iteration)  (swap and reset local write pointers iteration)  (swap local read pointers iteration)  */

/*  grEndMfmaIndex:6, lwStartMfmaIndex:37, lwEndMfmaIndex:47  */
/*  numMfmaForLR:15, barrierMfmaIndex:48, LocalWritePerMfma:0.730 */
/*  mfmaIndex:32  */
_ds_load_u8 v137, v[vgprLocalReadAddrA] offset:10496 // L -> Reg lro=10240 swapByteOffset=0 ti=128 vIdx=0 rIdx=1 oIdx=0 buffer=3 iui=0
_ds_load_u8_d16_hi v138, v[vgprLocalReadAddrA] offset:10752 // L -> Reg lro=10240 swapByteOffset=0 ti=128 vIdx=0 rIdx=2 oIdx=0 buffer=3 iui=0
_ds_load_u8_d16_hi v139, v[vgprLocalReadAddrA] offset:11008 // L -> Reg lro=10240 swapByteOffset=0 ti=128 vIdx=0 rIdx=3 oIdx=0 buffer=3 iui=0
s_waitcnt lgkmcnt(3)                               // lgkmcnt=0 vmcnt=-1wait for prior local read local write old=0, new=3 newLW=0 newLR=3
/* pack scheduling: packAIdx:6, packBIdx:0 */
_v_lshl_or_b32 v[vgprValuA_X2_I0+0], v125, 0x8, v[vgprValuA_X2_I0+0] // pack two int8 Vgpr to one half Vgpr
_v_lshl_or_b32 v126, v127, 0x8, v126               // pack two int8 Vgpr to one half Vgpr
v_or_b32 v[vgprValuA_X2_I0+0], v[vgprValuA_X2_I0+0], v126 // pack two half Vgpr to one Vgpr
_v_lshl_or_b32 v[vgprValuA_X2_I0+1], v128, 0x8, v[vgprValuA_X2_I0+1] // pack two int8 Vgpr to one half Vgpr
_v_lshl_or_b32 v129, v130, 0x8, v129               // pack two int8 Vgpr to one half Vgpr
v_or_b32 v[vgprValuA_X2_I0+1], v[vgprValuA_X2_I0+1], v129 // pack two half Vgpr to one Vgpr
	;; [unrolled: 3-line block ×4, first 2 shown]
v_mfma_f32_32x32x16_fp8_fp8 a[0+0:15+0], v[vgprValuA_X2_I0+0+0+0:vgprValuA_X2_I0+0+0+0+1], v[vgprValuB_X2_I0+0+0+0:vgprValuB_X2_I0+0+0+0+1], a[0:15]
/*  mfmaIndex:33  */
_ds_load_u8 v140, v[vgprLocalReadAddrA] offset:11520 // L -> Reg lro=10240 swapByteOffset=0 ti=128 vIdx=0 rIdx=5 oIdx=0 buffer=3 iui=0
_ds_load_u8_d16_hi v141, v[vgprLocalReadAddrA] offset:11776 // L -> Reg lro=10240 swapByteOffset=0 ti=128 vIdx=0 rIdx=6 oIdx=0 buffer=3 iui=0
_ds_load_u8_d16_hi v142, v[vgprLocalReadAddrA] offset:12032 // L -> Reg lro=10240 swapByteOffset=0 ti=128 vIdx=0 rIdx=7 oIdx=0 buffer=3 iui=0
v_mfma_f32_32x32x16_fp8_fp8 a[16+0:31+0], v[vgprValuA_X2_I0+2+0+0:vgprValuA_X2_I0+2+0+0+1], v[vgprValuB_X2_I0+0+0+0:vgprValuB_X2_I0+0+0+0+1], a[16:31]
/*  mfmaIndex:34  */
_ds_load_u8 v143, v[vgprLocalReadAddrA] offset:10624 // L -> Reg lro=10240 swapByteOffset=0 ti=128 vIdx=1 rIdx=1 oIdx=0 buffer=3 iui=0
_ds_load_u8_d16_hi v144, v[vgprLocalReadAddrA] offset:10880 // L -> Reg lro=10240 swapByteOffset=0 ti=128 vIdx=1 rIdx=2 oIdx=0 buffer=3 iui=0
_ds_load_u8_d16_hi v145, v[vgprLocalReadAddrA] offset:11136 // L -> Reg lro=10240 swapByteOffset=0 ti=128 vIdx=1 rIdx=3 oIdx=0 buffer=3 iui=0
	;; [unrolled: 5-line block ×3, first 2 shown]
v_mfma_f32_32x32x16_fp8_fp8 a[32+0:47+0], v[vgprValuA_X2_I0+0+0+0:vgprValuA_X2_I0+0+0+0+1], v[vgprValuB_X2_I0+4+0+0:vgprValuB_X2_I0+4+0+0+1], a[32:47]
/*  mfmaIndex:36  */
/* localReadsVacancy: latencyLeft 6 */
/* 1 LDS buffer: read-sync-write */
s_waitcnt lgkmcnt(0)                               // 
s_barrier                                          // 
v_mfma_f32_32x32x16_fp8_fp8 a[64+0:79+0], v[vgprValuA_X2_I0+0+0+0:vgprValuA_X2_I0+0+0+0+1], v[vgprValuB_X2_I0+8+0+0:vgprValuB_X2_I0+8+0+0+1], a[64:79]
/*  mfmaIndex:37  */
/* sched write - iter 2 writesPerItem=1 */
s_waitcnt vmcnt(0)                                 // lgkmcnt=-1 vmcnt=0wait for global read before writing to local
_ds_store_b128 v[vgprLocalWriteAddrA], v[vgprG2LA+0:vgprG2LA+0+3] offset:0 // lwoA_0_0_0_0 = (0*LSCA) + (0*LSPA)(*MT0I+PAD) = 0
v_mfma_f32_32x32x16_fp8_fp8 a[80+0:95+0], v[vgprValuA_X2_I0+2+0+0:vgprValuA_X2_I0+2+0+0+1], v[vgprValuB_X2_I0+8+0+0:vgprValuB_X2_I0+8+0+0+1], a[80:95]
/*  mfmaIndex:38  */
_buffer_load_b128 v[vgprG2LA+0:vgprG2LA+0+3], v[vgprGlobalReadOffsetA+0], s[sgprSrdA:sgprSrdA+3], 0, offen offset:0 // G -> Reg 0_0_0_0
/* sched write - iter 2 writesPerItem=1 */
s_waitcnt vmcnt(0)                                 // lgkmcnt=-1 vmcnt=0wait for global read before writing to local
_ds_store_b128 v[vgprLocalWriteAddrA], v[vgprG2LA+4:vgprG2LA+4+3] offset:128 // lwoA_1_0_0_0 = (1*LSCA) + (0*LSPA)(*MT0I+PAD) = 128
v_mfma_f32_32x32x16_fp8_fp8 a[112+0:127+0], v[vgprValuA_X2_I0+2+0+0:vgprValuA_X2_I0+2+0+0+1], v[vgprValuB_X2_I0+12+0+0:vgprValuB_X2_I0+12+0+0+1], a[112:127]
/*  mfmaIndex:39  */
_buffer_load_b128 v[vgprG2LA+4:vgprG2LA+4+3], v[vgprGlobalReadOffsetA+1], s[sgprSrdA:sgprSrdA+3], 0, offen offset:0 // G -> Reg 1_0_0_0
/* sched write - iter 2 writesPerItem=1 */
s_waitcnt vmcnt(0)                                 // lgkmcnt=-1 vmcnt=0wait for global read before writing to local
_ds_store_b128 v[vgprLocalWriteAddrA], v[vgprG2LA+8:vgprG2LA+8+3] offset:8192 // lwoA_0_0_1_0 = (0*LSCA) + (1*LSPA)(*MT0I+PAD) = 8192
v_mfma_f32_32x32x16_fp8_fp8 a[96+0:111+0], v[vgprValuA_X2_I0+0+0+0:vgprValuA_X2_I0+0+0+0+1], v[vgprValuB_X2_I0+12+0+0:vgprValuB_X2_I0+12+0+0+1], a[96:111]
/*  mfmaIndex:40  */
_buffer_load_b128 v[vgprG2LA+8:vgprG2LA+8+3], v[vgprGlobalReadOffsetA+2], s[sgprSrdA:sgprSrdA+3], 0, offen offset:0 // G -> Reg 0_0_1_0
v_mfma_f32_32x32x16_fp8_fp8 a[128+0:143+0], v[vgprValuA_X2_I0+0+0+0:vgprValuA_X2_I0+0+0+0+1], v[vgprValuB_X2_I0+16+0+0:vgprValuB_X2_I0+16+0+0+1], a[128:143]
/*  mfmaIndex:41  */
/* sched write - iter 2 writesPerItem=1 */
s_waitcnt vmcnt(0)                                 // lgkmcnt=-1 vmcnt=0wait for global read before writing to local
_ds_store_b128 v[vgprLocalWriteAddrA], v[vgprG2LA+12:vgprG2LA+12+3] offset:8320 // lwoA_1_0_1_0 = (1*LSCA) + (1*LSPA)(*MT0I+PAD) = 8320
v_mfma_f32_32x32x16_fp8_fp8 a[144+0:159+0], v[vgprValuA_X2_I0+2+0+0:vgprValuA_X2_I0+2+0+0+1], v[vgprValuB_X2_I0+16+0+0:vgprValuB_X2_I0+16+0+0+1], a[144:159]
/*  mfmaIndex:42  */
_buffer_load_b128 v[vgprG2LA+12:vgprG2LA+12+3], v[vgprGlobalReadOffsetA+3], s[sgprSrdA:sgprSrdA+3], 0, offen offset:0 // G -> Reg 1_0_1_0
/* sched write - iter 2 writesPerItem=1 */
s_waitcnt vmcnt(0)                                 // lgkmcnt=-1 vmcnt=0wait for global read before writing to local
_ds_store_b128 v[vgprLocalWriteAddrB], v[vgprG2LB+0:vgprG2LB+0+3] offset:0 // lwoB_0_0_0_0 = (0*LSCB)*(MT1J+PAD) + (0*LSPB) = 0
v_mfma_f32_32x32x16_fp8_fp8 a[176+0:191+0], v[vgprValuA_X2_I0+2+0+0:vgprValuA_X2_I0+2+0+0+1], v[vgprValuB_X2_I0+20+0+0:vgprValuB_X2_I0+20+0+0+1], a[176:191]
/*  mfmaIndex:43  */
_buffer_load_b128 v[vgprG2LB+0:vgprG2LB+0+3], v[vgprGlobalReadOffsetB+0], s[sgprSrdB:sgprSrdB+3], 0, offen offset:0 // G -> Reg 0_0_0_0
/* sched write - iter 2 writesPerItem=1 */
s_waitcnt vmcnt(0)                                 // lgkmcnt=-1 vmcnt=0wait for global read before writing to local
_ds_store_b128 v[vgprLocalWriteAddrB], v[vgprG2LB+4:vgprG2LB+4+3] offset:4608 // lwoB_0_0_1_0 = (0*LSCB)*(MT1J+PAD) + (1*LSPB) = 4608
v_mfma_f32_32x32x16_fp8_fp8 a[160+0:175+0], v[vgprValuA_X2_I0+0+0+0:vgprValuA_X2_I0+0+0+0+1], v[vgprValuB_X2_I0+20+0+0:vgprValuB_X2_I0+20+0+0+1], a[160:175]
/*  mfmaIndex:44  */
_buffer_load_b128 v[vgprG2LB+4:vgprG2LB+4+3], v[vgprGlobalReadOffsetB+1], s[sgprSrdB:sgprSrdB+3], 0, offen offset:0 // G -> Reg 0_0_1_0
v_mfma_f32_32x32x16_fp8_fp8 a[192+0:207+0], v[vgprValuA_X2_I0+0+0+0:vgprValuA_X2_I0+0+0+0+1], v[vgprValuB_X2_I0+24+0+0:vgprValuB_X2_I0+24+0+0+1], a[192:207]
/*  mfmaIndex:45  */
/* sched write - iter 2 writesPerItem=1 */
s_waitcnt vmcnt(0)                                 // lgkmcnt=-1 vmcnt=0wait for global read before writing to local
_ds_store_b128 v[vgprLocalWriteAddrB], v[vgprG2LB+8:vgprG2LB+8+3] offset:9216 // lwoB_0_0_2_0 = (0*LSCB)*(MT1J+PAD) + (2*LSPB) = 9216
v_mfma_f32_32x32x16_fp8_fp8 a[208+0:223+0], v[vgprValuA_X2_I0+2+0+0:vgprValuA_X2_I0+2+0+0+1], v[vgprValuB_X2_I0+24+0+0:vgprValuB_X2_I0+24+0+0+1], a[208:223]
/*  mfmaIndex:46  */
_buffer_load_b128 v[vgprG2LB+8:vgprG2LB+8+3], v[vgprGlobalReadOffsetB+2], s[sgprSrdB:sgprSrdB+3], 0, offen offset:0 // G -> Reg 0_0_2_0
/* sched write - iter 2 writesPerItem=1 */
s_waitcnt vmcnt(0)                                 // lgkmcnt=-1 vmcnt=0wait for global read before writing to local
_ds_store_b128 v[vgprLocalWriteAddrB], v[vgprG2LB+12:vgprG2LB+12+3] offset:13824 // lwoB_0_0_3_0 = (0*LSCB)*(MT1J+PAD) + (3*LSPB) = 13824
v_mfma_f32_32x32x16_fp8_fp8 a[240+0:255+0], v[vgprValuA_X2_I0+2+0+0:vgprValuA_X2_I0+2+0+0+1], v[vgprValuB_X2_I0+28+0+0:vgprValuB_X2_I0+28+0+0+1], a[240:255]
/*  mfmaIndex:47  */
_buffer_load_b128 v[vgprG2LB+12:vgprG2LB+12+3], v[vgprGlobalReadOffsetB+3], s[sgprSrdB:sgprSrdB+3], 0, offen offset:0 // G -> Reg 0_0_3_0

/* local write swap offsets a */

/* local write swap offsets b */

/* local read swap offsets a */

/* local read swap offsets b */

/* local read init pointers a */

/* localReadInitPointers */

/* local read init pointers b */

/* localReadInitPointers */
v_mfma_f32_32x32x16_fp8_fp8 a[224+0:239+0], v[vgprValuA_X2_I0+0+0+0:vgprValuA_X2_I0+0+0+0+1], v[vgprValuB_X2_I0+28+0+0:vgprValuB_X2_I0+28+0+0+1], a[224:239]
/* numPrefetchIter=0 */
/* dataAtIterA=1 numReadsIterA=3 skipReadsIterA=1 readsPerIterA=16 */
/* dataAtIterB=0 numReadsIterB=1 skipReadsIterB=0 readsPerIterB=8 */


/* iter 3 */

/*  grEndMfmaIndex:6, lwStartMfmaIndex:37, lwEndMfmaIndex:47  */
/*  numMfmaForLR:15, barrierMfmaIndex:48, LocalWritePerMfma:0.730 */
/*  mfmaIndex:48  */
s_waitcnt lgkmcnt(0)                               // lgkmcnt=0 vmcnt=-13wait for local write
// Skip force waitcnt0
s_barrier //
/* pack scheduling: packAIdx:6, packBIdx:0 */
_v_lshl_or_b32 v[vgprValuA_X3_I0+0], v137, 0x8, v[vgprValuA_X3_I0+0] // pack two int8 Vgpr to one half Vgpr
_v_lshl_or_b32 v138, v139, 0x8, v138               // pack two int8 Vgpr to one half Vgpr
v_or_b32 v[vgprValuA_X3_I0+0], v[vgprValuA_X3_I0+0], v138 // pack two half Vgpr to one Vgpr
_v_lshl_or_b32 v[vgprValuA_X3_I0+1], v140, 0x8, v[vgprValuA_X3_I0+1] // pack two int8 Vgpr to one half Vgpr
_v_lshl_or_b32 v141, v142, 0x8, v141               // pack two int8 Vgpr to one half Vgpr
v_or_b32 v[vgprValuA_X3_I0+1], v[vgprValuA_X3_I0+1], v141 // pack two half Vgpr to one Vgpr
	;; [unrolled: 3-line block ×4, first 2 shown]
v_mfma_f32_32x32x16_fp8_fp8 a[0+0:15+0], v[vgprValuA_X3_I0+0+0+0:vgprValuA_X3_I0+0+0+0+1], v[vgprValuB_X2_I0+0+2+0:vgprValuB_X2_I0+0+2+0+1], a[0:15]
/*  mfmaIndex:49  */
_ds_load_u8 v[vgprValuA_X0_I0+0], v[vgprLocalReadAddrA] offset:0 // L -> Reg lro=0 swapByteOffset=0 ti=128 vIdx=0 rIdx=0 oIdx=0 buffer=0 iui=0
_ds_load_u8 v125, v[vgprLocalReadAddrA] offset:256 // L -> Reg lro=0 swapByteOffset=0 ti=128 vIdx=0 rIdx=1 oIdx=0 buffer=0 iui=0
_ds_load_u8_d16_hi v126, v[vgprLocalReadAddrA] offset:512 // L -> Reg lro=0 swapByteOffset=0 ti=128 vIdx=0 rIdx=2 oIdx=0 buffer=0 iui=0
v_mfma_f32_32x32x16_fp8_fp8 a[16+0:31+0], v[vgprValuA_X3_I0+2+0+0:vgprValuA_X3_I0+2+0+0+1], v[vgprValuB_X2_I0+0+2+0:vgprValuB_X2_I0+0+2+0+1], a[16:31]
/*  mfmaIndex:50  */
_ds_load_u8_d16_hi v127, v[vgprLocalReadAddrA] offset:768 // L -> Reg lro=0 swapByteOffset=0 ti=128 vIdx=0 rIdx=3 oIdx=0 buffer=0 iui=0
_ds_load_u8 v[vgprValuA_X0_I0+1], v[vgprLocalReadAddrA] offset:1024 // L -> Reg lro=0 swapByteOffset=0 ti=128 vIdx=0 rIdx=4 oIdx=0 buffer=0 iui=0
_ds_load_u8 v128, v[vgprLocalReadAddrA] offset:1280 // L -> Reg lro=0 swapByteOffset=0 ti=128 vIdx=0 rIdx=5 oIdx=0 buffer=0 iui=0
v_mfma_f32_32x32x16_fp8_fp8 a[48+0:63+0], v[vgprValuA_X3_I0+2+0+0:vgprValuA_X3_I0+2+0+0+1], v[vgprValuB_X2_I0+4+2+0:vgprValuB_X2_I0+4+2+0+1], a[48:63]
/*  mfmaIndex:51  */
_ds_load_u8_d16_hi v129, v[vgprLocalReadAddrA] offset:1536 // L -> Reg lro=0 swapByteOffset=0 ti=128 vIdx=0 rIdx=6 oIdx=0 buffer=0 iui=0
_ds_load_u8_d16_hi v130, v[vgprLocalReadAddrA] offset:1792 // L -> Reg lro=0 swapByteOffset=0 ti=128 vIdx=0 rIdx=7 oIdx=0 buffer=0 iui=0
v_mfma_f32_32x32x16_fp8_fp8 a[32+0:47+0], v[vgprValuA_X3_I0+0+0+0:vgprValuA_X3_I0+0+0+0+1], v[vgprValuB_X2_I0+4+2+0:vgprValuB_X2_I0+4+2+0+1], a[32:47]
/*  mfmaIndex:52  */
_ds_load_b128 v[vgprValuB_X0_I0+0:vgprValuB_X0_I0+0+3], v[vgprLocalReadAddrB] offset:0 // L -> Reg lro=0 swapByteOffset=0 ti=32 vIdx=0 rIdx=0 oIdx=0 buffer=0 iui=0
_ds_load_u8 v[vgprValuA_X0_I0+2], v[vgprLocalReadAddrA] offset:128 // L -> Reg lro=0 swapByteOffset=0 ti=128 vIdx=1 rIdx=0 oIdx=0 buffer=0 iui=0
v_mfma_f32_32x32x16_fp8_fp8 a[64+0:79+0], v[vgprValuA_X3_I0+0+0+0:vgprValuA_X3_I0+0+0+0+1], v[vgprValuB_X2_I0+8+2+0:vgprValuB_X2_I0+8+2+0+1], a[64:79]
/*  mfmaIndex:53  */
_ds_load_u8 v131, v[vgprLocalReadAddrA] offset:384 // L -> Reg lro=0 swapByteOffset=0 ti=128 vIdx=1 rIdx=1 oIdx=0 buffer=0 iui=0
_ds_load_u8_d16_hi v132, v[vgprLocalReadAddrA] offset:640 // L -> Reg lro=0 swapByteOffset=0 ti=128 vIdx=1 rIdx=2 oIdx=0 buffer=0 iui=0
_ds_load_u8_d16_hi v133, v[vgprLocalReadAddrA] offset:896 // L -> Reg lro=0 swapByteOffset=0 ti=128 vIdx=1 rIdx=3 oIdx=0 buffer=0 iui=0
v_mfma_f32_32x32x16_fp8_fp8 a[80+0:95+0], v[vgprValuA_X3_I0+2+0+0:vgprValuA_X3_I0+2+0+0+1], v[vgprValuB_X2_I0+8+2+0:vgprValuB_X2_I0+8+2+0+1], a[80:95]
/*  mfmaIndex:54  */
_ds_load_u8 v[vgprValuA_X0_I0+3], v[vgprLocalReadAddrA] offset:1152 // L -> Reg lro=0 swapByteOffset=0 ti=128 vIdx=1 rIdx=4 oIdx=0 buffer=0 iui=0
_ds_load_u8 v134, v[vgprLocalReadAddrA] offset:1408 // L -> Reg lro=0 swapByteOffset=0 ti=128 vIdx=1 rIdx=5 oIdx=0 buffer=0 iui=0
_ds_load_u8_d16_hi v135, v[vgprLocalReadAddrA] offset:1664 // L -> Reg lro=0 swapByteOffset=0 ti=128 vIdx=1 rIdx=6 oIdx=0 buffer=0 iui=0
v_mfma_f32_32x32x16_fp8_fp8 a[112+0:127+0], v[vgprValuA_X3_I0+2+0+0:vgprValuA_X3_I0+2+0+0+1], v[vgprValuB_X2_I0+12+2+0:vgprValuB_X2_I0+12+2+0+1], a[112:127]
/*  mfmaIndex:55  */
_ds_load_u8_d16_hi v136, v[vgprLocalReadAddrA] offset:1920 // L -> Reg lro=0 swapByteOffset=0 ti=128 vIdx=1 rIdx=7 oIdx=0 buffer=0 iui=0
_ds_load_b128 v[vgprValuB_X0_I0+4:vgprValuB_X0_I0+4+3], v[vgprLocalReadAddrB] offset:2304 // L -> Reg lro=0 swapByteOffset=0 ti=32 vIdx=1 rIdx=0 oIdx=0 buffer=0 iui=0
v_mfma_f32_32x32x16_fp8_fp8 a[96+0:111+0], v[vgprValuA_X3_I0+0+0+0:vgprValuA_X3_I0+0+0+0+1], v[vgprValuB_X2_I0+12+2+0:vgprValuB_X2_I0+12+2+0+1], a[96:111]
/*  mfmaIndex:56  */
_ds_load_b128 v[vgprValuB_X0_I0+8:vgprValuB_X0_I0+8+3], v[vgprLocalReadAddrB] offset:4608 // L -> Reg lro=0 swapByteOffset=0 ti=32 vIdx=2 rIdx=0 oIdx=0 buffer=0 iui=0
_ds_load_b128 v[vgprValuB_X0_I0+12:vgprValuB_X0_I0+12+3], v[vgprLocalReadAddrB] offset:6912 // L -> Reg lro=0 swapByteOffset=0 ti=32 vIdx=3 rIdx=0 oIdx=0 buffer=0 iui=0
v_mfma_f32_32x32x16_fp8_fp8 a[128+0:143+0], v[vgprValuA_X3_I0+0+0+0:vgprValuA_X3_I0+0+0+0+1], v[vgprValuB_X2_I0+16+2+0:vgprValuB_X2_I0+16+2+0+1], a[128:143]
/*  mfmaIndex:57  */
_ds_load_b128 v[vgprValuB_X0_I0+16:vgprValuB_X0_I0+16+3], v[vgprLocalReadAddrB] offset:9216 // L -> Reg lro=0 swapByteOffset=0 ti=32 vIdx=4 rIdx=0 oIdx=0 buffer=0 iui=0
	;; [unrolled: 4-line block ×3, first 2 shown]
v_mfma_f32_32x32x16_fp8_fp8 a[176+0:191+0], v[vgprValuA_X3_I0+2+0+0:vgprValuA_X3_I0+2+0+0+1], v[vgprValuB_X2_I0+20+2+0:vgprValuB_X2_I0+20+2+0+1], a[176:191]
/*  mfmaIndex:59  */
_ds_load_b128 v[vgprValuB_X0_I0+28:vgprValuB_X0_I0+28+3], v[vgprLocalReadAddrB] offset:16128 // L -> Reg lro=0 swapByteOffset=0 ti=32 vIdx=7 rIdx=0 oIdx=0 buffer=0 iui=0
v_mfma_f32_32x32x16_fp8_fp8 a[160+0:175+0], v[vgprValuA_X3_I0+0+0+0:vgprValuA_X3_I0+0+0+0+1], v[vgprValuB_X2_I0+20+2+0:vgprValuB_X2_I0+20+2+0+1], a[160:175]
/*  mfmaIndex:60  */
v_mfma_f32_32x32x16_fp8_fp8 a[192+0:207+0], v[vgprValuA_X3_I0+0+0+0:vgprValuA_X3_I0+0+0+0+1], v[vgprValuB_X2_I0+24+2+0:vgprValuB_X2_I0+24+2+0+1], a[192:207]
/*  mfmaIndex:61  */
	;; [unrolled: 2-line block ×4, first 2 shown]
v_mfma_f32_32x32x16_fp8_fp8 a[224+0:239+0], v[vgprValuA_X3_I0+0+0+0:vgprValuA_X3_I0+0+0+0+1], v[vgprValuB_X2_I0+28+2+0:vgprValuB_X2_I0+28+2+0+1], a[224:239]


/******************************************/
/* Unrolled Loop - End 1/2                */
/******************************************/


/* closeLoop loopL finalLoop=0 tailLoop=0 */
s_sub_u32 s[sgprLoopCounterL], s[sgprLoopCounterL], 1 // dec counterL
s_cmp_eq_i32 s[sgprLoopCounterL], 0x2              // counterL==2
s_cbranch_scc1 LoopEndL_oddexit_3                  // exit LoopL


/******************************************/
/* Unrolled Loop 2/2 - Begin              */
/******************************************/

label_0016: // LoopCopy2 


/* Begin Each Unroll: Check VGPR.checkin for INT8 LW */


	;; [unrolled: 1-line block ×3, first 2 shown]
/* iter 0 */

/*  grEndMfmaIndex:6, lwStartMfmaIndex:37, lwEndMfmaIndex:47  */
/*  numMfmaForLR:15, barrierMfmaIndex:48, LocalWritePerMfma:0.730 */
/*  mfmaIndex:0  */
s_waitcnt lgkmcnt(0)                               // lgkmcnt=0 vmcnt=-1wait for prior local read local write old=0, new=0 newLW=0 newLR=0
/* pack scheduling: packAIdx:6, packBIdx:0 */
_v_lshl_or_b32 v[vgprValuA_X0_I0+0], v125, 0x8, v[vgprValuA_X0_I0+0] // pack two int8 Vgpr to one half Vgpr
_v_lshl_or_b32 v126, v127, 0x8, v126               // pack two int8 Vgpr to one half Vgpr
v_or_b32 v[vgprValuA_X0_I0+0], v[vgprValuA_X0_I0+0], v126 // pack two half Vgpr to one Vgpr
_v_lshl_or_b32 v[vgprValuA_X0_I0+1], v128, 0x8, v[vgprValuA_X0_I0+1] // pack two int8 Vgpr to one half Vgpr
_v_lshl_or_b32 v129, v130, 0x8, v129               // pack two int8 Vgpr to one half Vgpr
v_or_b32 v[vgprValuA_X0_I0+1], v[vgprValuA_X0_I0+1], v129 // pack two half Vgpr to one Vgpr
	;; [unrolled: 3-line block ×4, first 2 shown]
v_mfma_f32_32x32x16_fp8_fp8 a[0+0:15+0], v[vgprValuA_X0_I0+0+0+0:vgprValuA_X0_I0+0+0+0+1], v[vgprValuB_X0_I0+0+0+0:vgprValuB_X0_I0+0+0+0+1], a[0:15]
/*  mfmaIndex:1  */
_ds_load_u8 v[vgprValuA_X1_I0+0], v[vgprLocalReadAddrA] offset:2048 // L -> Reg lro=2048 swapByteOffset=0 ti=128 vIdx=0 rIdx=0 oIdx=0 buffer=1 iui=0
_ds_load_u8 v137, v[vgprLocalReadAddrA] offset:2304 // L -> Reg lro=2048 swapByteOffset=0 ti=128 vIdx=0 rIdx=1 oIdx=0 buffer=1 iui=0
_ds_load_u8_d16_hi v138, v[vgprLocalReadAddrA] offset:2560 // L -> Reg lro=2048 swapByteOffset=0 ti=128 vIdx=0 rIdx=2 oIdx=0 buffer=1 iui=0

/* global read inc A loopL */
s_cmp_eq_u32 s[sgprLoopCounterL], s[sgprStaggerUIter] // Is this the wrapIter?
s_cselect_b32 s56, s[sgprWrapUA+0], s[sgprGlobalReadIncsA+0] // incLower <- ?
s_cselect_b32 s57, s[sgprWrapUA+1], 0              // incUpper <- ?
v_mfma_f32_32x32x16_fp8_fp8 a[16+0:31+0], v[vgprValuA_X0_I0+2+0+0:vgprValuA_X0_I0+2+0+0+1], v[vgprValuB_X0_I0+0+0+0:vgprValuB_X0_I0+0+0+0+1], a[16:31]
/*  mfmaIndex:2  */
_ds_load_u8_d16_hi v139, v[vgprLocalReadAddrA] offset:2816 // L -> Reg lro=2048 swapByteOffset=0 ti=128 vIdx=0 rIdx=3 oIdx=0 buffer=1 iui=0
_ds_load_u8 v[vgprValuA_X1_I0+1], v[vgprLocalReadAddrA] offset:3072 // L -> Reg lro=2048 swapByteOffset=0 ti=128 vIdx=0 rIdx=4 oIdx=0 buffer=1 iui=0
_ds_load_u8 v140, v[vgprLocalReadAddrA] offset:3328 // L -> Reg lro=2048 swapByteOffset=0 ti=128 vIdx=0 rIdx=5 oIdx=0 buffer=1 iui=0
s_add_u32 s[sgprSrdA+0], s[sgprSrdA+0], s56        // gra SRD += inc(lower)
s_addc_u32  s[sgprSrdA+1], s[sgprSrdA+1], s57      // gra SRD += inc(upper)
s_sub_u32 s[sgprShadowLimitA+0], s[sgprShadowLimitA+0], s56 // limit -= inc)
v_mfma_f32_32x32x16_fp8_fp8 a[48+0:63+0], v[vgprValuA_X0_I0+2+0+0:vgprValuA_X0_I0+2+0+0+1], v[vgprValuB_X0_I0+4+0+0:vgprValuB_X0_I0+4+0+0+1], a[48:63]
/*  mfmaIndex:3  */
_ds_load_u8_d16_hi v141, v[vgprLocalReadAddrA] offset:3584 // L -> Reg lro=2048 swapByteOffset=0 ti=128 vIdx=0 rIdx=6 oIdx=0 buffer=1 iui=0
_ds_load_u8_d16_hi v142, v[vgprLocalReadAddrA] offset:3840 // L -> Reg lro=2048 swapByteOffset=0 ti=128 vIdx=0 rIdx=7 oIdx=0 buffer=1 iui=0
s_subb_u32 s[sgprShadowLimitA+1], s[sgprShadowLimitA+1], s57 // limit -= inc)
s_cmp_eq_u32 s[sgprShadowLimitA+1], 0              // are we within 2^32?
s_cselect_b32 s[sgprSrdA+2], s[sgprShadowLimitA+0], BufferLimitA // Move shadow to real if we are within 2^32
v_mfma_f32_32x32x16_fp8_fp8 a[32+0:47+0], v[vgprValuA_X0_I0+0+0+0:vgprValuA_X0_I0+0+0+0+1], v[vgprValuB_X0_I0+4+0+0:vgprValuB_X0_I0+4+0+0+1], a[32:47]
/*  mfmaIndex:4  */
_ds_load_b128 v[vgprValuB_X2_I0+0:vgprValuB_X2_I0+0+3], v[vgprLocalReadAddrB] offset:32 // L -> Reg lro=32 swapByteOffset=0 ti=32 vIdx=0 rIdx=0 oIdx=0 buffer=2 iui=0
_ds_load_u8 v[vgprValuA_X1_I0+2], v[vgprLocalReadAddrA] offset:2176 // L -> Reg lro=2048 swapByteOffset=0 ti=128 vIdx=1 rIdx=0 oIdx=0 buffer=1 iui=0

/* global read inc B loopL */
s_cmp_eq_u32 s[sgprLoopCounterL], s[sgprStaggerUIter] // Is this the wrapIter?
s_cselect_b32 s56, s[sgprWrapUB+0], s[sgprGlobalReadIncsB+0] // incLower <- ?
s_cselect_b32 s57, s[sgprWrapUB+1], 0              // incUpper <- ?
v_mfma_f32_32x32x16_fp8_fp8 a[64+0:79+0], v[vgprValuA_X0_I0+0+0+0:vgprValuA_X0_I0+0+0+0+1], v[vgprValuB_X0_I0+8+0+0:vgprValuB_X0_I0+8+0+0+1], a[64:79]
/*  mfmaIndex:5  */
_ds_load_u8 v143, v[vgprLocalReadAddrA] offset:2432 // L -> Reg lro=2048 swapByteOffset=0 ti=128 vIdx=1 rIdx=1 oIdx=0 buffer=1 iui=0
_ds_load_u8_d16_hi v144, v[vgprLocalReadAddrA] offset:2688 // L -> Reg lro=2048 swapByteOffset=0 ti=128 vIdx=1 rIdx=2 oIdx=0 buffer=1 iui=0
_ds_load_u8_d16_hi v145, v[vgprLocalReadAddrA] offset:2944 // L -> Reg lro=2048 swapByteOffset=0 ti=128 vIdx=1 rIdx=3 oIdx=0 buffer=1 iui=0
s_add_u32 s[sgprSrdB+0], s[sgprSrdB+0], s56        // gra SRD += inc(lower)
s_addc_u32  s[sgprSrdB+1], s[sgprSrdB+1], s57      // gra SRD += inc(upper)
s_sub_u32 s[sgprShadowLimitB+0], s[sgprShadowLimitB+0], s56 // limit -= inc)
v_mfma_f32_32x32x16_fp8_fp8 a[80+0:95+0], v[vgprValuA_X0_I0+2+0+0:vgprValuA_X0_I0+2+0+0+1], v[vgprValuB_X0_I0+8+0+0:vgprValuB_X0_I0+8+0+0+1], a[80:95]
/*  mfmaIndex:6  */
_ds_load_u8 v[vgprValuA_X1_I0+3], v[vgprLocalReadAddrA] offset:3200 // L -> Reg lro=2048 swapByteOffset=0 ti=128 vIdx=1 rIdx=4 oIdx=0 buffer=1 iui=0
_ds_load_u8 v146, v[vgprLocalReadAddrA] offset:3456 // L -> Reg lro=2048 swapByteOffset=0 ti=128 vIdx=1 rIdx=5 oIdx=0 buffer=1 iui=0
_ds_load_u8_d16_hi v147, v[vgprLocalReadAddrA] offset:3712 // L -> Reg lro=2048 swapByteOffset=0 ti=128 vIdx=1 rIdx=6 oIdx=0 buffer=1 iui=0
s_subb_u32 s[sgprShadowLimitB+1], s[sgprShadowLimitB+1], s57 // limit -= inc)
s_cmp_eq_u32 s[sgprShadowLimitB+1], 0              // are we within 2^32?
s_cselect_b32 s[sgprSrdB+2], s[sgprShadowLimitB+0], BufferLimitB // Move shadow to real if we are within 2^32
v_mfma_f32_32x32x16_fp8_fp8 a[112+0:127+0], v[vgprValuA_X0_I0+2+0+0:vgprValuA_X0_I0+2+0+0+1], v[vgprValuB_X0_I0+12+0+0:vgprValuB_X0_I0+12+0+0+1], a[112:127]
/*  mfmaIndex:7  */
_ds_load_u8_d16_hi v148, v[vgprLocalReadAddrA] offset:3968 // L -> Reg lro=2048 swapByteOffset=0 ti=128 vIdx=1 rIdx=7 oIdx=0 buffer=1 iui=0
_ds_load_b128 v[vgprValuB_X2_I0+4:vgprValuB_X2_I0+4+3], v[vgprLocalReadAddrB] offset:2336 // L -> Reg lro=32 swapByteOffset=0 ti=32 vIdx=1 rIdx=0 oIdx=0 buffer=2 iui=0
v_mfma_f32_32x32x16_fp8_fp8 a[96+0:111+0], v[vgprValuA_X0_I0+0+0+0:vgprValuA_X0_I0+0+0+0+1], v[vgprValuB_X0_I0+12+0+0:vgprValuB_X0_I0+12+0+0+1], a[96:111]
/*  mfmaIndex:8  */
_ds_load_b128 v[vgprValuB_X2_I0+8:vgprValuB_X2_I0+8+3], v[vgprLocalReadAddrB] offset:4640 // L -> Reg lro=32 swapByteOffset=0 ti=32 vIdx=2 rIdx=0 oIdx=0 buffer=2 iui=0
_ds_load_b128 v[vgprValuB_X2_I0+12:vgprValuB_X2_I0+12+3], v[vgprLocalReadAddrB] offset:6944 // L -> Reg lro=32 swapByteOffset=0 ti=32 vIdx=3 rIdx=0 oIdx=0 buffer=2 iui=0
v_mfma_f32_32x32x16_fp8_fp8 a[128+0:143+0], v[vgprValuA_X0_I0+0+0+0:vgprValuA_X0_I0+0+0+0+1], v[vgprValuB_X0_I0+16+0+0:vgprValuB_X0_I0+16+0+0+1], a[128:143]
/*  mfmaIndex:9  */
_ds_load_b128 v[vgprValuB_X2_I0+16:vgprValuB_X2_I0+16+3], v[vgprLocalReadAddrB] offset:9248 // L -> Reg lro=32 swapByteOffset=0 ti=32 vIdx=4 rIdx=0 oIdx=0 buffer=2 iui=0
	;; [unrolled: 4-line block ×3, first 2 shown]
v_mfma_f32_32x32x16_fp8_fp8 a[176+0:191+0], v[vgprValuA_X0_I0+2+0+0:vgprValuA_X0_I0+2+0+0+1], v[vgprValuB_X0_I0+20+0+0:vgprValuB_X0_I0+20+0+0+1], a[176:191]
/*  mfmaIndex:11  */
_ds_load_b128 v[vgprValuB_X2_I0+28:vgprValuB_X2_I0+28+3], v[vgprLocalReadAddrB] offset:16160 // L -> Reg lro=32 swapByteOffset=0 ti=32 vIdx=7 rIdx=0 oIdx=0 buffer=2 iui=0
/* localReadsVacancy: latencyLeft 2 */
_ds_load_u8 v[vgprValuA_X2_I0+0], v[vgprLocalReadAddrA] offset:8192 // L -> Reg lro=8192 swapByteOffset=0 ti=128 vIdx=0 rIdx=0 oIdx=0 buffer=2 iui=0
v_mfma_f32_32x32x16_fp8_fp8 a[160+0:175+0], v[vgprValuA_X0_I0+0+0+0:vgprValuA_X0_I0+0+0+0+1], v[vgprValuB_X0_I0+20+0+0:vgprValuB_X0_I0+20+0+0+1], a[160:175]
/*  mfmaIndex:12  */
/* localReadsVacancy: latencyLeft 6 */
_ds_load_u8 v[vgprValuA_X2_I0+1], v[vgprLocalReadAddrA] offset:9216 // L -> Reg lro=8192 swapByteOffset=0 ti=128 vIdx=0 rIdx=4 oIdx=0 buffer=2 iui=0
_ds_load_u8 v[vgprValuA_X2_I0+2], v[vgprLocalReadAddrA] offset:8320 // L -> Reg lro=8192 swapByteOffset=0 ti=128 vIdx=1 rIdx=0 oIdx=0 buffer=2 iui=0
	;; [unrolled: 1-line block ×3, first 2 shown]
v_mfma_f32_32x32x16_fp8_fp8 a[192+0:207+0], v[vgprValuA_X0_I0+0+0+0:vgprValuA_X0_I0+0+0+0+1], v[vgprValuB_X0_I0+24+0+0:vgprValuB_X0_I0+24+0+0+1], a[192:207]
/*  mfmaIndex:13  */
/* localReadsVacancy: latencyLeft 6 */
_ds_load_u8 v[vgprValuA_X3_I0+0], v[vgprLocalReadAddrA] offset:10240 // L -> Reg lro=10240 swapByteOffset=0 ti=128 vIdx=0 rIdx=0 oIdx=0 buffer=3 iui=0
_ds_load_u8 v[vgprValuA_X3_I0+1], v[vgprLocalReadAddrA] offset:11264 // L -> Reg lro=10240 swapByteOffset=0 ti=128 vIdx=0 rIdx=4 oIdx=0 buffer=3 iui=0
	;; [unrolled: 1-line block ×3, first 2 shown]
v_mfma_f32_32x32x16_fp8_fp8 a[208+0:223+0], v[vgprValuA_X0_I0+2+0+0:vgprValuA_X0_I0+2+0+0+1], v[vgprValuB_X0_I0+24+0+0:vgprValuB_X0_I0+24+0+0+1], a[208:223]
/*  mfmaIndex:14  */
/* localReadsVacancy: latencyLeft 6 */
_ds_load_u8 v[vgprValuA_X3_I0+3], v[vgprLocalReadAddrA] offset:11392 // L -> Reg lro=10240 swapByteOffset=0 ti=128 vIdx=1 rIdx=4 oIdx=0 buffer=3 iui=0
v_mfma_f32_32x32x16_fp8_fp8 a[240+0:255+0], v[vgprValuA_X0_I0+2+0+0:vgprValuA_X0_I0+2+0+0+1], v[vgprValuB_X0_I0+28+0+0:vgprValuB_X0_I0+28+0+0+1], a[240:255]
/*  mfmaIndex:15  */
/* localReadsVacancy: latencyLeft 6 */
v_mfma_f32_32x32x16_fp8_fp8 a[224+0:239+0], v[vgprValuA_X0_I0+0+0+0:vgprValuA_X0_I0+0+0+0+1], v[vgprValuB_X0_I0+28+0+0:vgprValuB_X0_I0+28+0+0+1], a[224:239]
/* numPrefetchIter=0 */
/* dataAtIterA=-1 numReadsIterA=1 skipReadsIterA=1 readsPerIterA=16 */
/* dataAtIterB=-1 numReadsIterB=1 skipReadsIterB=1 readsPerIterB=8 */


/* iter 1 */

/*  grEndMfmaIndex:6, lwStartMfmaIndex:37, lwEndMfmaIndex:47  */
/*  numMfmaForLR:15, barrierMfmaIndex:48, LocalWritePerMfma:0.730 */
/*  mfmaIndex:16  */
_ds_load_u8 v125, v[vgprLocalReadAddrA] offset:8448 // L -> Reg lro=8192 swapByteOffset=0 ti=128 vIdx=0 rIdx=1 oIdx=0 buffer=2 iui=0
_ds_load_u8_d16_hi v126, v[vgprLocalReadAddrA] offset:8704 // L -> Reg lro=8192 swapByteOffset=0 ti=128 vIdx=0 rIdx=2 oIdx=0 buffer=2 iui=0
_ds_load_u8_d16_hi v127, v[vgprLocalReadAddrA] offset:8960 // L -> Reg lro=8192 swapByteOffset=0 ti=128 vIdx=0 rIdx=3 oIdx=0 buffer=2 iui=0
s_waitcnt lgkmcnt(11)                              // lgkmcnt=0 vmcnt=-1wait for prior local read local write old=4, new=7 newLW=0 newLR=3
/* pack scheduling: packAIdx:6, packBIdx:0 */
_v_lshl_or_b32 v[vgprValuA_X1_I0+0], v137, 0x8, v[vgprValuA_X1_I0+0] // pack two int8 Vgpr to one half Vgpr
_v_lshl_or_b32 v138, v139, 0x8, v138               // pack two int8 Vgpr to one half Vgpr
v_or_b32 v[vgprValuA_X1_I0+0], v[vgprValuA_X1_I0+0], v138 // pack two half Vgpr to one Vgpr
_v_lshl_or_b32 v[vgprValuA_X1_I0+1], v140, 0x8, v[vgprValuA_X1_I0+1] // pack two int8 Vgpr to one half Vgpr
_v_lshl_or_b32 v141, v142, 0x8, v141               // pack two int8 Vgpr to one half Vgpr
v_or_b32 v[vgprValuA_X1_I0+1], v[vgprValuA_X1_I0+1], v141 // pack two half Vgpr to one Vgpr
	;; [unrolled: 3-line block ×4, first 2 shown]
v_mfma_f32_32x32x16_fp8_fp8 a[0+0:15+0], v[vgprValuA_X1_I0+0+0+0:vgprValuA_X1_I0+0+0+0+1], v[vgprValuB_X0_I0+0+2+0:vgprValuB_X0_I0+0+2+0+1], a[0:15]
/*  mfmaIndex:17  */
_ds_load_u8 v128, v[vgprLocalReadAddrA] offset:9472 // L -> Reg lro=8192 swapByteOffset=0 ti=128 vIdx=0 rIdx=5 oIdx=0 buffer=2 iui=0
_ds_load_u8_d16_hi v129, v[vgprLocalReadAddrA] offset:9728 // L -> Reg lro=8192 swapByteOffset=0 ti=128 vIdx=0 rIdx=6 oIdx=0 buffer=2 iui=0
_ds_load_u8_d16_hi v130, v[vgprLocalReadAddrA] offset:9984 // L -> Reg lro=8192 swapByteOffset=0 ti=128 vIdx=0 rIdx=7 oIdx=0 buffer=2 iui=0
v_mfma_f32_32x32x16_fp8_fp8 a[16+0:31+0], v[vgprValuA_X1_I0+2+0+0:vgprValuA_X1_I0+2+0+0+1], v[vgprValuB_X0_I0+0+2+0:vgprValuB_X0_I0+0+2+0+1], a[16:31]
/*  mfmaIndex:18  */
_ds_load_u8 v131, v[vgprLocalReadAddrA] offset:8576 // L -> Reg lro=8192 swapByteOffset=0 ti=128 vIdx=1 rIdx=1 oIdx=0 buffer=2 iui=0
_ds_load_u8_d16_hi v132, v[vgprLocalReadAddrA] offset:8832 // L -> Reg lro=8192 swapByteOffset=0 ti=128 vIdx=1 rIdx=2 oIdx=0 buffer=2 iui=0
_ds_load_u8_d16_hi v133, v[vgprLocalReadAddrA] offset:9088 // L -> Reg lro=8192 swapByteOffset=0 ti=128 vIdx=1 rIdx=3 oIdx=0 buffer=2 iui=0
	;; [unrolled: 5-line block ×3, first 2 shown]
v_mfma_f32_32x32x16_fp8_fp8 a[32+0:47+0], v[vgprValuA_X1_I0+0+0+0:vgprValuA_X1_I0+0+0+0+1], v[vgprValuB_X0_I0+4+2+0:vgprValuB_X0_I0+4+2+0+1], a[32:47]
/*  mfmaIndex:20  */
/* localReadsVacancy: latencyLeft 6 */
v_mfma_f32_32x32x16_fp8_fp8 a[64+0:79+0], v[vgprValuA_X1_I0+0+0+0:vgprValuA_X1_I0+0+0+0+1], v[vgprValuB_X0_I0+8+2+0:vgprValuB_X0_I0+8+2+0+1], a[64:79]
/*  mfmaIndex:21  */
/* localReadsVacancy: latencyLeft 6 */
	;; [unrolled: 3-line block ×12, first 2 shown]
v_mfma_f32_32x32x16_fp8_fp8 a[224+0:239+0], v[vgprValuA_X1_I0+0+0+0:vgprValuA_X1_I0+0+0+0+1], v[vgprValuB_X0_I0+28+2+0:vgprValuB_X0_I0+28+2+0+1], a[224:239]
/* numPrefetchIter=0 */
/* dataAtIterA=0 numReadsIterA=2 skipReadsIterA=1 readsPerIterA=16 */
/* dataAtIterB=-1 numReadsIterB=1 skipReadsIterB=0 readsPerIterB=8 */


/* iter 2 (reset local read pointers iteration)  (swap and reset local write pointers iteration)  (swap local read pointers iteration)  */

/*  grEndMfmaIndex:6, lwStartMfmaIndex:37, lwEndMfmaIndex:47  */
/*  numMfmaForLR:15, barrierMfmaIndex:48, LocalWritePerMfma:0.730 */
/*  mfmaIndex:32  */
_ds_load_u8 v137, v[vgprLocalReadAddrA] offset:10496 // L -> Reg lro=10240 swapByteOffset=0 ti=128 vIdx=0 rIdx=1 oIdx=0 buffer=3 iui=0
_ds_load_u8_d16_hi v138, v[vgprLocalReadAddrA] offset:10752 // L -> Reg lro=10240 swapByteOffset=0 ti=128 vIdx=0 rIdx=2 oIdx=0 buffer=3 iui=0
_ds_load_u8_d16_hi v139, v[vgprLocalReadAddrA] offset:11008 // L -> Reg lro=10240 swapByteOffset=0 ti=128 vIdx=0 rIdx=3 oIdx=0 buffer=3 iui=0
s_waitcnt lgkmcnt(3)                               // lgkmcnt=0 vmcnt=-1wait for prior local read local write old=0, new=3 newLW=0 newLR=3
/* pack scheduling: packAIdx:6, packBIdx:0 */
_v_lshl_or_b32 v[vgprValuA_X2_I0+0], v125, 0x8, v[vgprValuA_X2_I0+0] // pack two int8 Vgpr to one half Vgpr
_v_lshl_or_b32 v126, v127, 0x8, v126               // pack two int8 Vgpr to one half Vgpr
v_or_b32 v[vgprValuA_X2_I0+0], v[vgprValuA_X2_I0+0], v126 // pack two half Vgpr to one Vgpr
_v_lshl_or_b32 v[vgprValuA_X2_I0+1], v128, 0x8, v[vgprValuA_X2_I0+1] // pack two int8 Vgpr to one half Vgpr
_v_lshl_or_b32 v129, v130, 0x8, v129               // pack two int8 Vgpr to one half Vgpr
v_or_b32 v[vgprValuA_X2_I0+1], v[vgprValuA_X2_I0+1], v129 // pack two half Vgpr to one Vgpr
	;; [unrolled: 3-line block ×4, first 2 shown]
v_mfma_f32_32x32x16_fp8_fp8 a[0+0:15+0], v[vgprValuA_X2_I0+0+0+0:vgprValuA_X2_I0+0+0+0+1], v[vgprValuB_X2_I0+0+0+0:vgprValuB_X2_I0+0+0+0+1], a[0:15]
/*  mfmaIndex:33  */
_ds_load_u8 v140, v[vgprLocalReadAddrA] offset:11520 // L -> Reg lro=10240 swapByteOffset=0 ti=128 vIdx=0 rIdx=5 oIdx=0 buffer=3 iui=0
_ds_load_u8_d16_hi v141, v[vgprLocalReadAddrA] offset:11776 // L -> Reg lro=10240 swapByteOffset=0 ti=128 vIdx=0 rIdx=6 oIdx=0 buffer=3 iui=0
_ds_load_u8_d16_hi v142, v[vgprLocalReadAddrA] offset:12032 // L -> Reg lro=10240 swapByteOffset=0 ti=128 vIdx=0 rIdx=7 oIdx=0 buffer=3 iui=0
v_mfma_f32_32x32x16_fp8_fp8 a[16+0:31+0], v[vgprValuA_X2_I0+2+0+0:vgprValuA_X2_I0+2+0+0+1], v[vgprValuB_X2_I0+0+0+0:vgprValuB_X2_I0+0+0+0+1], a[16:31]
/*  mfmaIndex:34  */
_ds_load_u8 v143, v[vgprLocalReadAddrA] offset:10624 // L -> Reg lro=10240 swapByteOffset=0 ti=128 vIdx=1 rIdx=1 oIdx=0 buffer=3 iui=0
_ds_load_u8_d16_hi v144, v[vgprLocalReadAddrA] offset:10880 // L -> Reg lro=10240 swapByteOffset=0 ti=128 vIdx=1 rIdx=2 oIdx=0 buffer=3 iui=0
_ds_load_u8_d16_hi v145, v[vgprLocalReadAddrA] offset:11136 // L -> Reg lro=10240 swapByteOffset=0 ti=128 vIdx=1 rIdx=3 oIdx=0 buffer=3 iui=0
	;; [unrolled: 5-line block ×3, first 2 shown]
v_mfma_f32_32x32x16_fp8_fp8 a[32+0:47+0], v[vgprValuA_X2_I0+0+0+0:vgprValuA_X2_I0+0+0+0+1], v[vgprValuB_X2_I0+4+0+0:vgprValuB_X2_I0+4+0+0+1], a[32:47]
/*  mfmaIndex:36  */
/* localReadsVacancy: latencyLeft 6 */
/* 1 LDS buffer: read-sync-write */
s_waitcnt lgkmcnt(0)                               // 
s_barrier                                          // 
v_mfma_f32_32x32x16_fp8_fp8 a[64+0:79+0], v[vgprValuA_X2_I0+0+0+0:vgprValuA_X2_I0+0+0+0+1], v[vgprValuB_X2_I0+8+0+0:vgprValuB_X2_I0+8+0+0+1], a[64:79]
/*  mfmaIndex:37  */
/* sched write - iter 2 writesPerItem=1 */
s_waitcnt vmcnt(0)                                 // lgkmcnt=-1 vmcnt=0wait for global read before writing to local
_ds_store_b128 v[vgprLocalWriteAddrA], v[vgprG2LA+0:vgprG2LA+0+3] offset:0 // lwoA_0_0_0_0 = (0*LSCA) + (0*LSPA)(*MT0I+PAD) = 0
v_mfma_f32_32x32x16_fp8_fp8 a[80+0:95+0], v[vgprValuA_X2_I0+2+0+0:vgprValuA_X2_I0+2+0+0+1], v[vgprValuB_X2_I0+8+0+0:vgprValuB_X2_I0+8+0+0+1], a[80:95]
/*  mfmaIndex:38  */
_buffer_load_b128 v[vgprG2LA+0:vgprG2LA+0+3], v[vgprGlobalReadOffsetA+0], s[sgprSrdA:sgprSrdA+3], 0, offen offset:0 // G -> Reg 0_0_0_0
/* sched write - iter 2 writesPerItem=1 */
s_waitcnt vmcnt(0)                                 // lgkmcnt=-1 vmcnt=0wait for global read before writing to local
_ds_store_b128 v[vgprLocalWriteAddrA], v[vgprG2LA+4:vgprG2LA+4+3] offset:128 // lwoA_1_0_0_0 = (1*LSCA) + (0*LSPA)(*MT0I+PAD) = 128
v_mfma_f32_32x32x16_fp8_fp8 a[112+0:127+0], v[vgprValuA_X2_I0+2+0+0:vgprValuA_X2_I0+2+0+0+1], v[vgprValuB_X2_I0+12+0+0:vgprValuB_X2_I0+12+0+0+1], a[112:127]
/*  mfmaIndex:39  */
_buffer_load_b128 v[vgprG2LA+4:vgprG2LA+4+3], v[vgprGlobalReadOffsetA+1], s[sgprSrdA:sgprSrdA+3], 0, offen offset:0 // G -> Reg 1_0_0_0
/* sched write - iter 2 writesPerItem=1 */
s_waitcnt vmcnt(0)                                 // lgkmcnt=-1 vmcnt=0wait for global read before writing to local
_ds_store_b128 v[vgprLocalWriteAddrA], v[vgprG2LA+8:vgprG2LA+8+3] offset:8192 // lwoA_0_0_1_0 = (0*LSCA) + (1*LSPA)(*MT0I+PAD) = 8192
v_mfma_f32_32x32x16_fp8_fp8 a[96+0:111+0], v[vgprValuA_X2_I0+0+0+0:vgprValuA_X2_I0+0+0+0+1], v[vgprValuB_X2_I0+12+0+0:vgprValuB_X2_I0+12+0+0+1], a[96:111]
/*  mfmaIndex:40  */
_buffer_load_b128 v[vgprG2LA+8:vgprG2LA+8+3], v[vgprGlobalReadOffsetA+2], s[sgprSrdA:sgprSrdA+3], 0, offen offset:0 // G -> Reg 0_0_1_0
v_mfma_f32_32x32x16_fp8_fp8 a[128+0:143+0], v[vgprValuA_X2_I0+0+0+0:vgprValuA_X2_I0+0+0+0+1], v[vgprValuB_X2_I0+16+0+0:vgprValuB_X2_I0+16+0+0+1], a[128:143]
/*  mfmaIndex:41  */
/* sched write - iter 2 writesPerItem=1 */
s_waitcnt vmcnt(0)                                 // lgkmcnt=-1 vmcnt=0wait for global read before writing to local
_ds_store_b128 v[vgprLocalWriteAddrA], v[vgprG2LA+12:vgprG2LA+12+3] offset:8320 // lwoA_1_0_1_0 = (1*LSCA) + (1*LSPA)(*MT0I+PAD) = 8320
v_mfma_f32_32x32x16_fp8_fp8 a[144+0:159+0], v[vgprValuA_X2_I0+2+0+0:vgprValuA_X2_I0+2+0+0+1], v[vgprValuB_X2_I0+16+0+0:vgprValuB_X2_I0+16+0+0+1], a[144:159]
/*  mfmaIndex:42  */
_buffer_load_b128 v[vgprG2LA+12:vgprG2LA+12+3], v[vgprGlobalReadOffsetA+3], s[sgprSrdA:sgprSrdA+3], 0, offen offset:0 // G -> Reg 1_0_1_0
/* sched write - iter 2 writesPerItem=1 */
s_waitcnt vmcnt(0)                                 // lgkmcnt=-1 vmcnt=0wait for global read before writing to local
_ds_store_b128 v[vgprLocalWriteAddrB], v[vgprG2LB+0:vgprG2LB+0+3] offset:0 // lwoB_0_0_0_0 = (0*LSCB)*(MT1J+PAD) + (0*LSPB) = 0
v_mfma_f32_32x32x16_fp8_fp8 a[176+0:191+0], v[vgprValuA_X2_I0+2+0+0:vgprValuA_X2_I0+2+0+0+1], v[vgprValuB_X2_I0+20+0+0:vgprValuB_X2_I0+20+0+0+1], a[176:191]
/*  mfmaIndex:43  */
_buffer_load_b128 v[vgprG2LB+0:vgprG2LB+0+3], v[vgprGlobalReadOffsetB+0], s[sgprSrdB:sgprSrdB+3], 0, offen offset:0 // G -> Reg 0_0_0_0
/* sched write - iter 2 writesPerItem=1 */
s_waitcnt vmcnt(0)                                 // lgkmcnt=-1 vmcnt=0wait for global read before writing to local
_ds_store_b128 v[vgprLocalWriteAddrB], v[vgprG2LB+4:vgprG2LB+4+3] offset:4608 // lwoB_0_0_1_0 = (0*LSCB)*(MT1J+PAD) + (1*LSPB) = 4608
v_mfma_f32_32x32x16_fp8_fp8 a[160+0:175+0], v[vgprValuA_X2_I0+0+0+0:vgprValuA_X2_I0+0+0+0+1], v[vgprValuB_X2_I0+20+0+0:vgprValuB_X2_I0+20+0+0+1], a[160:175]
/*  mfmaIndex:44  */
_buffer_load_b128 v[vgprG2LB+4:vgprG2LB+4+3], v[vgprGlobalReadOffsetB+1], s[sgprSrdB:sgprSrdB+3], 0, offen offset:0 // G -> Reg 0_0_1_0
v_mfma_f32_32x32x16_fp8_fp8 a[192+0:207+0], v[vgprValuA_X2_I0+0+0+0:vgprValuA_X2_I0+0+0+0+1], v[vgprValuB_X2_I0+24+0+0:vgprValuB_X2_I0+24+0+0+1], a[192:207]
/*  mfmaIndex:45  */
/* sched write - iter 2 writesPerItem=1 */
s_waitcnt vmcnt(0)                                 // lgkmcnt=-1 vmcnt=0wait for global read before writing to local
_ds_store_b128 v[vgprLocalWriteAddrB], v[vgprG2LB+8:vgprG2LB+8+3] offset:9216 // lwoB_0_0_2_0 = (0*LSCB)*(MT1J+PAD) + (2*LSPB) = 9216
v_mfma_f32_32x32x16_fp8_fp8 a[208+0:223+0], v[vgprValuA_X2_I0+2+0+0:vgprValuA_X2_I0+2+0+0+1], v[vgprValuB_X2_I0+24+0+0:vgprValuB_X2_I0+24+0+0+1], a[208:223]
/*  mfmaIndex:46  */
_buffer_load_b128 v[vgprG2LB+8:vgprG2LB+8+3], v[vgprGlobalReadOffsetB+2], s[sgprSrdB:sgprSrdB+3], 0, offen offset:0 // G -> Reg 0_0_2_0
/* sched write - iter 2 writesPerItem=1 */
s_waitcnt vmcnt(0)                                 // lgkmcnt=-1 vmcnt=0wait for global read before writing to local
_ds_store_b128 v[vgprLocalWriteAddrB], v[vgprG2LB+12:vgprG2LB+12+3] offset:13824 // lwoB_0_0_3_0 = (0*LSCB)*(MT1J+PAD) + (3*LSPB) = 13824
v_mfma_f32_32x32x16_fp8_fp8 a[240+0:255+0], v[vgprValuA_X2_I0+2+0+0:vgprValuA_X2_I0+2+0+0+1], v[vgprValuB_X2_I0+28+0+0:vgprValuB_X2_I0+28+0+0+1], a[240:255]
/*  mfmaIndex:47  */
_buffer_load_b128 v[vgprG2LB+12:vgprG2LB+12+3], v[vgprGlobalReadOffsetB+3], s[sgprSrdB:sgprSrdB+3], 0, offen offset:0 // G -> Reg 0_0_3_0

/* local write swap offsets a */

/* local write swap offsets b */

/* local read swap offsets a */

/* local read swap offsets b */

/* local read init pointers a */

/* localReadInitPointers */

/* local read init pointers b */

/* localReadInitPointers */
v_mfma_f32_32x32x16_fp8_fp8 a[224+0:239+0], v[vgprValuA_X2_I0+0+0+0:vgprValuA_X2_I0+0+0+0+1], v[vgprValuB_X2_I0+28+0+0:vgprValuB_X2_I0+28+0+0+1], a[224:239]
/* numPrefetchIter=0 */
/* dataAtIterA=1 numReadsIterA=3 skipReadsIterA=1 readsPerIterA=16 */
/* dataAtIterB=0 numReadsIterB=1 skipReadsIterB=0 readsPerIterB=8 */


/* iter 3 */

/*  grEndMfmaIndex:6, lwStartMfmaIndex:37, lwEndMfmaIndex:47  */
/*  numMfmaForLR:15, barrierMfmaIndex:48, LocalWritePerMfma:0.730 */
/*  mfmaIndex:48  */
s_waitcnt lgkmcnt(0)                               // lgkmcnt=0 vmcnt=-13wait for local write
// Skip force waitcnt0
s_barrier //
/* pack scheduling: packAIdx:6, packBIdx:0 */
_v_lshl_or_b32 v[vgprValuA_X3_I0+0], v137, 0x8, v[vgprValuA_X3_I0+0] // pack two int8 Vgpr to one half Vgpr
_v_lshl_or_b32 v138, v139, 0x8, v138               // pack two int8 Vgpr to one half Vgpr
v_or_b32 v[vgprValuA_X3_I0+0], v[vgprValuA_X3_I0+0], v138 // pack two half Vgpr to one Vgpr
_v_lshl_or_b32 v[vgprValuA_X3_I0+1], v140, 0x8, v[vgprValuA_X3_I0+1] // pack two int8 Vgpr to one half Vgpr
_v_lshl_or_b32 v141, v142, 0x8, v141               // pack two int8 Vgpr to one half Vgpr
v_or_b32 v[vgprValuA_X3_I0+1], v[vgprValuA_X3_I0+1], v141 // pack two half Vgpr to one Vgpr
	;; [unrolled: 3-line block ×4, first 2 shown]
v_mfma_f32_32x32x16_fp8_fp8 a[0+0:15+0], v[vgprValuA_X3_I0+0+0+0:vgprValuA_X3_I0+0+0+0+1], v[vgprValuB_X2_I0+0+2+0:vgprValuB_X2_I0+0+2+0+1], a[0:15]
/*  mfmaIndex:49  */
_ds_load_u8 v[vgprValuA_X0_I0+0], v[vgprLocalReadAddrA] offset:0 // L -> Reg lro=0 swapByteOffset=0 ti=128 vIdx=0 rIdx=0 oIdx=0 buffer=0 iui=0
_ds_load_u8 v125, v[vgprLocalReadAddrA] offset:256 // L -> Reg lro=0 swapByteOffset=0 ti=128 vIdx=0 rIdx=1 oIdx=0 buffer=0 iui=0
_ds_load_u8_d16_hi v126, v[vgprLocalReadAddrA] offset:512 // L -> Reg lro=0 swapByteOffset=0 ti=128 vIdx=0 rIdx=2 oIdx=0 buffer=0 iui=0
v_mfma_f32_32x32x16_fp8_fp8 a[16+0:31+0], v[vgprValuA_X3_I0+2+0+0:vgprValuA_X3_I0+2+0+0+1], v[vgprValuB_X2_I0+0+2+0:vgprValuB_X2_I0+0+2+0+1], a[16:31]
/*  mfmaIndex:50  */
_ds_load_u8_d16_hi v127, v[vgprLocalReadAddrA] offset:768 // L -> Reg lro=0 swapByteOffset=0 ti=128 vIdx=0 rIdx=3 oIdx=0 buffer=0 iui=0
_ds_load_u8 v[vgprValuA_X0_I0+1], v[vgprLocalReadAddrA] offset:1024 // L -> Reg lro=0 swapByteOffset=0 ti=128 vIdx=0 rIdx=4 oIdx=0 buffer=0 iui=0
_ds_load_u8 v128, v[vgprLocalReadAddrA] offset:1280 // L -> Reg lro=0 swapByteOffset=0 ti=128 vIdx=0 rIdx=5 oIdx=0 buffer=0 iui=0
v_mfma_f32_32x32x16_fp8_fp8 a[48+0:63+0], v[vgprValuA_X3_I0+2+0+0:vgprValuA_X3_I0+2+0+0+1], v[vgprValuB_X2_I0+4+2+0:vgprValuB_X2_I0+4+2+0+1], a[48:63]
/*  mfmaIndex:51  */
_ds_load_u8_d16_hi v129, v[vgprLocalReadAddrA] offset:1536 // L -> Reg lro=0 swapByteOffset=0 ti=128 vIdx=0 rIdx=6 oIdx=0 buffer=0 iui=0
_ds_load_u8_d16_hi v130, v[vgprLocalReadAddrA] offset:1792 // L -> Reg lro=0 swapByteOffset=0 ti=128 vIdx=0 rIdx=7 oIdx=0 buffer=0 iui=0
v_mfma_f32_32x32x16_fp8_fp8 a[32+0:47+0], v[vgprValuA_X3_I0+0+0+0:vgprValuA_X3_I0+0+0+0+1], v[vgprValuB_X2_I0+4+2+0:vgprValuB_X2_I0+4+2+0+1], a[32:47]
/*  mfmaIndex:52  */
_ds_load_b128 v[vgprValuB_X0_I0+0:vgprValuB_X0_I0+0+3], v[vgprLocalReadAddrB] offset:0 // L -> Reg lro=0 swapByteOffset=0 ti=32 vIdx=0 rIdx=0 oIdx=0 buffer=0 iui=0
_ds_load_u8 v[vgprValuA_X0_I0+2], v[vgprLocalReadAddrA] offset:128 // L -> Reg lro=0 swapByteOffset=0 ti=128 vIdx=1 rIdx=0 oIdx=0 buffer=0 iui=0
v_mfma_f32_32x32x16_fp8_fp8 a[64+0:79+0], v[vgprValuA_X3_I0+0+0+0:vgprValuA_X3_I0+0+0+0+1], v[vgprValuB_X2_I0+8+2+0:vgprValuB_X2_I0+8+2+0+1], a[64:79]
/*  mfmaIndex:53  */
_ds_load_u8 v131, v[vgprLocalReadAddrA] offset:384 // L -> Reg lro=0 swapByteOffset=0 ti=128 vIdx=1 rIdx=1 oIdx=0 buffer=0 iui=0
_ds_load_u8_d16_hi v132, v[vgprLocalReadAddrA] offset:640 // L -> Reg lro=0 swapByteOffset=0 ti=128 vIdx=1 rIdx=2 oIdx=0 buffer=0 iui=0
_ds_load_u8_d16_hi v133, v[vgprLocalReadAddrA] offset:896 // L -> Reg lro=0 swapByteOffset=0 ti=128 vIdx=1 rIdx=3 oIdx=0 buffer=0 iui=0
v_mfma_f32_32x32x16_fp8_fp8 a[80+0:95+0], v[vgprValuA_X3_I0+2+0+0:vgprValuA_X3_I0+2+0+0+1], v[vgprValuB_X2_I0+8+2+0:vgprValuB_X2_I0+8+2+0+1], a[80:95]
/*  mfmaIndex:54  */
_ds_load_u8 v[vgprValuA_X0_I0+3], v[vgprLocalReadAddrA] offset:1152 // L -> Reg lro=0 swapByteOffset=0 ti=128 vIdx=1 rIdx=4 oIdx=0 buffer=0 iui=0
_ds_load_u8 v134, v[vgprLocalReadAddrA] offset:1408 // L -> Reg lro=0 swapByteOffset=0 ti=128 vIdx=1 rIdx=5 oIdx=0 buffer=0 iui=0
_ds_load_u8_d16_hi v135, v[vgprLocalReadAddrA] offset:1664 // L -> Reg lro=0 swapByteOffset=0 ti=128 vIdx=1 rIdx=6 oIdx=0 buffer=0 iui=0
v_mfma_f32_32x32x16_fp8_fp8 a[112+0:127+0], v[vgprValuA_X3_I0+2+0+0:vgprValuA_X3_I0+2+0+0+1], v[vgprValuB_X2_I0+12+2+0:vgprValuB_X2_I0+12+2+0+1], a[112:127]
/*  mfmaIndex:55  */
_ds_load_u8_d16_hi v136, v[vgprLocalReadAddrA] offset:1920 // L -> Reg lro=0 swapByteOffset=0 ti=128 vIdx=1 rIdx=7 oIdx=0 buffer=0 iui=0
_ds_load_b128 v[vgprValuB_X0_I0+4:vgprValuB_X0_I0+4+3], v[vgprLocalReadAddrB] offset:2304 // L -> Reg lro=0 swapByteOffset=0 ti=32 vIdx=1 rIdx=0 oIdx=0 buffer=0 iui=0
v_mfma_f32_32x32x16_fp8_fp8 a[96+0:111+0], v[vgprValuA_X3_I0+0+0+0:vgprValuA_X3_I0+0+0+0+1], v[vgprValuB_X2_I0+12+2+0:vgprValuB_X2_I0+12+2+0+1], a[96:111]
/*  mfmaIndex:56  */
_ds_load_b128 v[vgprValuB_X0_I0+8:vgprValuB_X0_I0+8+3], v[vgprLocalReadAddrB] offset:4608 // L -> Reg lro=0 swapByteOffset=0 ti=32 vIdx=2 rIdx=0 oIdx=0 buffer=0 iui=0
_ds_load_b128 v[vgprValuB_X0_I0+12:vgprValuB_X0_I0+12+3], v[vgprLocalReadAddrB] offset:6912 // L -> Reg lro=0 swapByteOffset=0 ti=32 vIdx=3 rIdx=0 oIdx=0 buffer=0 iui=0
v_mfma_f32_32x32x16_fp8_fp8 a[128+0:143+0], v[vgprValuA_X3_I0+0+0+0:vgprValuA_X3_I0+0+0+0+1], v[vgprValuB_X2_I0+16+2+0:vgprValuB_X2_I0+16+2+0+1], a[128:143]
/*  mfmaIndex:57  */
_ds_load_b128 v[vgprValuB_X0_I0+16:vgprValuB_X0_I0+16+3], v[vgprLocalReadAddrB] offset:9216 // L -> Reg lro=0 swapByteOffset=0 ti=32 vIdx=4 rIdx=0 oIdx=0 buffer=0 iui=0
	;; [unrolled: 4-line block ×3, first 2 shown]
v_mfma_f32_32x32x16_fp8_fp8 a[176+0:191+0], v[vgprValuA_X3_I0+2+0+0:vgprValuA_X3_I0+2+0+0+1], v[vgprValuB_X2_I0+20+2+0:vgprValuB_X2_I0+20+2+0+1], a[176:191]
/*  mfmaIndex:59  */
_ds_load_b128 v[vgprValuB_X0_I0+28:vgprValuB_X0_I0+28+3], v[vgprLocalReadAddrB] offset:16128 // L -> Reg lro=0 swapByteOffset=0 ti=32 vIdx=7 rIdx=0 oIdx=0 buffer=0 iui=0
v_mfma_f32_32x32x16_fp8_fp8 a[160+0:175+0], v[vgprValuA_X3_I0+0+0+0:vgprValuA_X3_I0+0+0+0+1], v[vgprValuB_X2_I0+20+2+0:vgprValuB_X2_I0+20+2+0+1], a[160:175]
/*  mfmaIndex:60  */
v_mfma_f32_32x32x16_fp8_fp8 a[192+0:207+0], v[vgprValuA_X3_I0+0+0+0:vgprValuA_X3_I0+0+0+0+1], v[vgprValuB_X2_I0+24+2+0:vgprValuB_X2_I0+24+2+0+1], a[192:207]
/*  mfmaIndex:61  */
	;; [unrolled: 2-line block ×4, first 2 shown]
v_mfma_f32_32x32x16_fp8_fp8 a[224+0:239+0], v[vgprValuA_X3_I0+0+0+0:vgprValuA_X3_I0+0+0+0+1], v[vgprValuB_X2_I0+28+2+0:vgprValuB_X2_I0+28+2+0+1], a[224:239]


/******************************************/
/* Unrolled Loop - End 2/2 (final)        */
/******************************************/


/* closeLoop loopL finalLoop=1 tailLoop=0 */
s_sub_u32 s[sgprLoopCounterL], s[sgprLoopCounterL], 1 // dec counterL
s_cmp_eq_i32 s[sgprLoopCounterL], 0x2              // counterL==2
s_cbranch_scc0 LoopBeginL_1                        // restart LoopL
LoopEndL_evenexit_4: // unroll loop eveniter exit
s_branch LoopEndL_2                                // exit unroll loopL (and skip second exit code)
LoopEndL_oddexit_3: // unroll loop odditer exit

/* Select high bank of LDS */
LoopEndL_2:


/* Before NLL: Check VGPR.checkin for INT8 LW */


/******************************************/
/* Ord. NoGlobalLoadLoop - Begin                                      */
/******************************************/


	;; [unrolled: 1-line block ×3, first 2 shown]
/* iter 0 */

/*  grEndMfmaIndex:6, lwStartMfmaIndex:37, lwEndMfmaIndex:47  */
/*  numMfmaForLR:15, barrierMfmaIndex:48, LocalWritePerMfma:0.730 */
/*  mfmaIndex:0  */
s_waitcnt lgkmcnt(0)                               // lgkmcnt=0 vmcnt=-1wait for prior local read local write old=0, new=0 newLW=0 newLR=0
/* pack scheduling: packAIdx:6, packBIdx:0 */
_v_lshl_or_b32 v[vgprValuA_X0_I0+0], v125, 0x8, v[vgprValuA_X0_I0+0] // pack two int8 Vgpr to one half Vgpr
_v_lshl_or_b32 v126, v127, 0x8, v126               // pack two int8 Vgpr to one half Vgpr
v_or_b32 v[vgprValuA_X0_I0+0], v[vgprValuA_X0_I0+0], v126 // pack two half Vgpr to one Vgpr
_v_lshl_or_b32 v[vgprValuA_X0_I0+1], v128, 0x8, v[vgprValuA_X0_I0+1] // pack two int8 Vgpr to one half Vgpr
_v_lshl_or_b32 v129, v130, 0x8, v129               // pack two int8 Vgpr to one half Vgpr
v_or_b32 v[vgprValuA_X0_I0+1], v[vgprValuA_X0_I0+1], v129 // pack two half Vgpr to one Vgpr
	;; [unrolled: 3-line block ×4, first 2 shown]
v_mfma_f32_32x32x16_fp8_fp8 a[0+0:15+0], v[vgprValuA_X0_I0+0+0+0:vgprValuA_X0_I0+0+0+0+1], v[vgprValuB_X0_I0+0+0+0:vgprValuB_X0_I0+0+0+0+1], a[0:15]
/*  mfmaIndex:1  */
_ds_load_u8 v[vgprValuA_X1_I0+0], v[vgprLocalReadAddrA] offset:2048 // L -> Reg lro=2048 swapByteOffset=0 ti=128 vIdx=0 rIdx=0 oIdx=0 buffer=1 iui=0
_ds_load_u8 v137, v[vgprLocalReadAddrA] offset:2304 // L -> Reg lro=2048 swapByteOffset=0 ti=128 vIdx=0 rIdx=1 oIdx=0 buffer=1 iui=0
_ds_load_u8_d16_hi v138, v[vgprLocalReadAddrA] offset:2560 // L -> Reg lro=2048 swapByteOffset=0 ti=128 vIdx=0 rIdx=2 oIdx=0 buffer=1 iui=0

/* global read inc A loopL */
s_cmp_eq_u32 s[sgprLoopCounterL], s[sgprStaggerUIter] // Is this the wrapIter?
s_cselect_b32 s56, s[sgprWrapUA+0], s[sgprGlobalReadIncsA+0] // incLower <- ?
s_cselect_b32 s57, s[sgprWrapUA+1], 0              // incUpper <- ?
v_mfma_f32_32x32x16_fp8_fp8 a[16+0:31+0], v[vgprValuA_X0_I0+2+0+0:vgprValuA_X0_I0+2+0+0+1], v[vgprValuB_X0_I0+0+0+0:vgprValuB_X0_I0+0+0+0+1], a[16:31]
/*  mfmaIndex:2  */
_ds_load_u8_d16_hi v139, v[vgprLocalReadAddrA] offset:2816 // L -> Reg lro=2048 swapByteOffset=0 ti=128 vIdx=0 rIdx=3 oIdx=0 buffer=1 iui=0
_ds_load_u8 v[vgprValuA_X1_I0+1], v[vgprLocalReadAddrA] offset:3072 // L -> Reg lro=2048 swapByteOffset=0 ti=128 vIdx=0 rIdx=4 oIdx=0 buffer=1 iui=0
_ds_load_u8 v140, v[vgprLocalReadAddrA] offset:3328 // L -> Reg lro=2048 swapByteOffset=0 ti=128 vIdx=0 rIdx=5 oIdx=0 buffer=1 iui=0
s_add_u32 s[sgprSrdA+0], s[sgprSrdA+0], s56        // gra SRD += inc(lower)
s_addc_u32  s[sgprSrdA+1], s[sgprSrdA+1], s57      // gra SRD += inc(upper)
s_sub_u32 s[sgprShadowLimitA+0], s[sgprShadowLimitA+0], s56 // limit -= inc)
v_mfma_f32_32x32x16_fp8_fp8 a[48+0:63+0], v[vgprValuA_X0_I0+2+0+0:vgprValuA_X0_I0+2+0+0+1], v[vgprValuB_X0_I0+4+0+0:vgprValuB_X0_I0+4+0+0+1], a[48:63]
/*  mfmaIndex:3  */
_ds_load_u8_d16_hi v141, v[vgprLocalReadAddrA] offset:3584 // L -> Reg lro=2048 swapByteOffset=0 ti=128 vIdx=0 rIdx=6 oIdx=0 buffer=1 iui=0
_ds_load_u8_d16_hi v142, v[vgprLocalReadAddrA] offset:3840 // L -> Reg lro=2048 swapByteOffset=0 ti=128 vIdx=0 rIdx=7 oIdx=0 buffer=1 iui=0
s_subb_u32 s[sgprShadowLimitA+1], s[sgprShadowLimitA+1], s57 // limit -= inc)
s_cmp_eq_u32 s[sgprShadowLimitA+1], 0              // are we within 2^32?
s_cselect_b32 s[sgprSrdA+2], s[sgprShadowLimitA+0], BufferLimitA // Move shadow to real if we are within 2^32
v_mfma_f32_32x32x16_fp8_fp8 a[32+0:47+0], v[vgprValuA_X0_I0+0+0+0:vgprValuA_X0_I0+0+0+0+1], v[vgprValuB_X0_I0+4+0+0:vgprValuB_X0_I0+4+0+0+1], a[32:47]
/*  mfmaIndex:4  */
_ds_load_b128 v[vgprValuB_X2_I0+0:vgprValuB_X2_I0+0+3], v[vgprLocalReadAddrB] offset:32 // L -> Reg lro=32 swapByteOffset=0 ti=32 vIdx=0 rIdx=0 oIdx=0 buffer=2 iui=0
_ds_load_u8 v[vgprValuA_X1_I0+2], v[vgprLocalReadAddrA] offset:2176 // L -> Reg lro=2048 swapByteOffset=0 ti=128 vIdx=1 rIdx=0 oIdx=0 buffer=1 iui=0

/* global read inc B loopL */
s_cmp_eq_u32 s[sgprLoopCounterL], s[sgprStaggerUIter] // Is this the wrapIter?
s_cselect_b32 s56, s[sgprWrapUB+0], s[sgprGlobalReadIncsB+0] // incLower <- ?
s_cselect_b32 s57, s[sgprWrapUB+1], 0              // incUpper <- ?
v_mfma_f32_32x32x16_fp8_fp8 a[64+0:79+0], v[vgprValuA_X0_I0+0+0+0:vgprValuA_X0_I0+0+0+0+1], v[vgprValuB_X0_I0+8+0+0:vgprValuB_X0_I0+8+0+0+1], a[64:79]
/*  mfmaIndex:5  */
_ds_load_u8 v143, v[vgprLocalReadAddrA] offset:2432 // L -> Reg lro=2048 swapByteOffset=0 ti=128 vIdx=1 rIdx=1 oIdx=0 buffer=1 iui=0
_ds_load_u8_d16_hi v144, v[vgprLocalReadAddrA] offset:2688 // L -> Reg lro=2048 swapByteOffset=0 ti=128 vIdx=1 rIdx=2 oIdx=0 buffer=1 iui=0
_ds_load_u8_d16_hi v145, v[vgprLocalReadAddrA] offset:2944 // L -> Reg lro=2048 swapByteOffset=0 ti=128 vIdx=1 rIdx=3 oIdx=0 buffer=1 iui=0
s_add_u32 s[sgprSrdB+0], s[sgprSrdB+0], s56        // gra SRD += inc(lower)
s_addc_u32  s[sgprSrdB+1], s[sgprSrdB+1], s57      // gra SRD += inc(upper)
s_sub_u32 s[sgprShadowLimitB+0], s[sgprShadowLimitB+0], s56 // limit -= inc)
v_mfma_f32_32x32x16_fp8_fp8 a[80+0:95+0], v[vgprValuA_X0_I0+2+0+0:vgprValuA_X0_I0+2+0+0+1], v[vgprValuB_X0_I0+8+0+0:vgprValuB_X0_I0+8+0+0+1], a[80:95]
/*  mfmaIndex:6  */
_ds_load_u8 v[vgprValuA_X1_I0+3], v[vgprLocalReadAddrA] offset:3200 // L -> Reg lro=2048 swapByteOffset=0 ti=128 vIdx=1 rIdx=4 oIdx=0 buffer=1 iui=0
_ds_load_u8 v146, v[vgprLocalReadAddrA] offset:3456 // L -> Reg lro=2048 swapByteOffset=0 ti=128 vIdx=1 rIdx=5 oIdx=0 buffer=1 iui=0
_ds_load_u8_d16_hi v147, v[vgprLocalReadAddrA] offset:3712 // L -> Reg lro=2048 swapByteOffset=0 ti=128 vIdx=1 rIdx=6 oIdx=0 buffer=1 iui=0
s_subb_u32 s[sgprShadowLimitB+1], s[sgprShadowLimitB+1], s57 // limit -= inc)
s_cmp_eq_u32 s[sgprShadowLimitB+1], 0              // are we within 2^32?
s_cselect_b32 s[sgprSrdB+2], s[sgprShadowLimitB+0], BufferLimitB // Move shadow to real if we are within 2^32
v_mfma_f32_32x32x16_fp8_fp8 a[112+0:127+0], v[vgprValuA_X0_I0+2+0+0:vgprValuA_X0_I0+2+0+0+1], v[vgprValuB_X0_I0+12+0+0:vgprValuB_X0_I0+12+0+0+1], a[112:127]
/*  mfmaIndex:7  */
_ds_load_u8_d16_hi v148, v[vgprLocalReadAddrA] offset:3968 // L -> Reg lro=2048 swapByteOffset=0 ti=128 vIdx=1 rIdx=7 oIdx=0 buffer=1 iui=0
_ds_load_b128 v[vgprValuB_X2_I0+4:vgprValuB_X2_I0+4+3], v[vgprLocalReadAddrB] offset:2336 // L -> Reg lro=32 swapByteOffset=0 ti=32 vIdx=1 rIdx=0 oIdx=0 buffer=2 iui=0
v_mfma_f32_32x32x16_fp8_fp8 a[96+0:111+0], v[vgprValuA_X0_I0+0+0+0:vgprValuA_X0_I0+0+0+0+1], v[vgprValuB_X0_I0+12+0+0:vgprValuB_X0_I0+12+0+0+1], a[96:111]
/*  mfmaIndex:8  */
_ds_load_b128 v[vgprValuB_X2_I0+8:vgprValuB_X2_I0+8+3], v[vgprLocalReadAddrB] offset:4640 // L -> Reg lro=32 swapByteOffset=0 ti=32 vIdx=2 rIdx=0 oIdx=0 buffer=2 iui=0
_ds_load_b128 v[vgprValuB_X2_I0+12:vgprValuB_X2_I0+12+3], v[vgprLocalReadAddrB] offset:6944 // L -> Reg lro=32 swapByteOffset=0 ti=32 vIdx=3 rIdx=0 oIdx=0 buffer=2 iui=0
v_mfma_f32_32x32x16_fp8_fp8 a[128+0:143+0], v[vgprValuA_X0_I0+0+0+0:vgprValuA_X0_I0+0+0+0+1], v[vgprValuB_X0_I0+16+0+0:vgprValuB_X0_I0+16+0+0+1], a[128:143]
/*  mfmaIndex:9  */
_ds_load_b128 v[vgprValuB_X2_I0+16:vgprValuB_X2_I0+16+3], v[vgprLocalReadAddrB] offset:9248 // L -> Reg lro=32 swapByteOffset=0 ti=32 vIdx=4 rIdx=0 oIdx=0 buffer=2 iui=0
	;; [unrolled: 4-line block ×3, first 2 shown]
v_mfma_f32_32x32x16_fp8_fp8 a[176+0:191+0], v[vgprValuA_X0_I0+2+0+0:vgprValuA_X0_I0+2+0+0+1], v[vgprValuB_X0_I0+20+0+0:vgprValuB_X0_I0+20+0+0+1], a[176:191]
/*  mfmaIndex:11  */
_ds_load_b128 v[vgprValuB_X2_I0+28:vgprValuB_X2_I0+28+3], v[vgprLocalReadAddrB] offset:16160 // L -> Reg lro=32 swapByteOffset=0 ti=32 vIdx=7 rIdx=0 oIdx=0 buffer=2 iui=0
/* localReadsVacancy: latencyLeft 2 */
_ds_load_u8 v[vgprValuA_X2_I0+0], v[vgprLocalReadAddrA] offset:8192 // L -> Reg lro=8192 swapByteOffset=0 ti=128 vIdx=0 rIdx=0 oIdx=0 buffer=2 iui=0
v_mfma_f32_32x32x16_fp8_fp8 a[160+0:175+0], v[vgprValuA_X0_I0+0+0+0:vgprValuA_X0_I0+0+0+0+1], v[vgprValuB_X0_I0+20+0+0:vgprValuB_X0_I0+20+0+0+1], a[160:175]
/*  mfmaIndex:12  */
/* localReadsVacancy: latencyLeft 6 */
_ds_load_u8 v[vgprValuA_X2_I0+1], v[vgprLocalReadAddrA] offset:9216 // L -> Reg lro=8192 swapByteOffset=0 ti=128 vIdx=0 rIdx=4 oIdx=0 buffer=2 iui=0
_ds_load_u8 v[vgprValuA_X2_I0+2], v[vgprLocalReadAddrA] offset:8320 // L -> Reg lro=8192 swapByteOffset=0 ti=128 vIdx=1 rIdx=0 oIdx=0 buffer=2 iui=0
	;; [unrolled: 1-line block ×3, first 2 shown]
v_mfma_f32_32x32x16_fp8_fp8 a[192+0:207+0], v[vgprValuA_X0_I0+0+0+0:vgprValuA_X0_I0+0+0+0+1], v[vgprValuB_X0_I0+24+0+0:vgprValuB_X0_I0+24+0+0+1], a[192:207]
/*  mfmaIndex:13  */
/* localReadsVacancy: latencyLeft 6 */
_ds_load_u8 v[vgprValuA_X3_I0+0], v[vgprLocalReadAddrA] offset:10240 // L -> Reg lro=10240 swapByteOffset=0 ti=128 vIdx=0 rIdx=0 oIdx=0 buffer=3 iui=0
_ds_load_u8 v[vgprValuA_X3_I0+1], v[vgprLocalReadAddrA] offset:11264 // L -> Reg lro=10240 swapByteOffset=0 ti=128 vIdx=0 rIdx=4 oIdx=0 buffer=3 iui=0
	;; [unrolled: 1-line block ×3, first 2 shown]
v_mfma_f32_32x32x16_fp8_fp8 a[208+0:223+0], v[vgprValuA_X0_I0+2+0+0:vgprValuA_X0_I0+2+0+0+1], v[vgprValuB_X0_I0+24+0+0:vgprValuB_X0_I0+24+0+0+1], a[208:223]
/*  mfmaIndex:14  */
/* localReadsVacancy: latencyLeft 6 */
_ds_load_u8 v[vgprValuA_X3_I0+3], v[vgprLocalReadAddrA] offset:11392 // L -> Reg lro=10240 swapByteOffset=0 ti=128 vIdx=1 rIdx=4 oIdx=0 buffer=3 iui=0
v_mfma_f32_32x32x16_fp8_fp8 a[240+0:255+0], v[vgprValuA_X0_I0+2+0+0:vgprValuA_X0_I0+2+0+0+1], v[vgprValuB_X0_I0+28+0+0:vgprValuB_X0_I0+28+0+0+1], a[240:255]
/*  mfmaIndex:15  */
/* localReadsVacancy: latencyLeft 6 */
v_mfma_f32_32x32x16_fp8_fp8 a[224+0:239+0], v[vgprValuA_X0_I0+0+0+0:vgprValuA_X0_I0+0+0+0+1], v[vgprValuB_X0_I0+28+0+0:vgprValuB_X0_I0+28+0+0+1], a[224:239]
/* numPrefetchIter=0 */
/* dataAtIterA=-1 numReadsIterA=1 skipReadsIterA=1 readsPerIterA=16 */
/* dataAtIterB=-1 numReadsIterB=1 skipReadsIterB=1 readsPerIterB=8 */


/* iter 1 */

/*  grEndMfmaIndex:6, lwStartMfmaIndex:37, lwEndMfmaIndex:47  */
/*  numMfmaForLR:15, barrierMfmaIndex:48, LocalWritePerMfma:0.730 */
/*  mfmaIndex:16  */
_ds_load_u8 v125, v[vgprLocalReadAddrA] offset:8448 // L -> Reg lro=8192 swapByteOffset=0 ti=128 vIdx=0 rIdx=1 oIdx=0 buffer=2 iui=0
_ds_load_u8_d16_hi v126, v[vgprLocalReadAddrA] offset:8704 // L -> Reg lro=8192 swapByteOffset=0 ti=128 vIdx=0 rIdx=2 oIdx=0 buffer=2 iui=0
_ds_load_u8_d16_hi v127, v[vgprLocalReadAddrA] offset:8960 // L -> Reg lro=8192 swapByteOffset=0 ti=128 vIdx=0 rIdx=3 oIdx=0 buffer=2 iui=0
s_waitcnt lgkmcnt(11)                              // lgkmcnt=0 vmcnt=-1wait for prior local read local write old=4, new=7 newLW=0 newLR=3
/* pack scheduling: packAIdx:6, packBIdx:0 */
_v_lshl_or_b32 v[vgprValuA_X1_I0+0], v137, 0x8, v[vgprValuA_X1_I0+0] // pack two int8 Vgpr to one half Vgpr
_v_lshl_or_b32 v138, v139, 0x8, v138               // pack two int8 Vgpr to one half Vgpr
v_or_b32 v[vgprValuA_X1_I0+0], v[vgprValuA_X1_I0+0], v138 // pack two half Vgpr to one Vgpr
_v_lshl_or_b32 v[vgprValuA_X1_I0+1], v140, 0x8, v[vgprValuA_X1_I0+1] // pack two int8 Vgpr to one half Vgpr
_v_lshl_or_b32 v141, v142, 0x8, v141               // pack two int8 Vgpr to one half Vgpr
v_or_b32 v[vgprValuA_X1_I0+1], v[vgprValuA_X1_I0+1], v141 // pack two half Vgpr to one Vgpr
	;; [unrolled: 3-line block ×4, first 2 shown]
v_mfma_f32_32x32x16_fp8_fp8 a[0+0:15+0], v[vgprValuA_X1_I0+0+0+0:vgprValuA_X1_I0+0+0+0+1], v[vgprValuB_X0_I0+0+2+0:vgprValuB_X0_I0+0+2+0+1], a[0:15]
/*  mfmaIndex:17  */
_ds_load_u8 v128, v[vgprLocalReadAddrA] offset:9472 // L -> Reg lro=8192 swapByteOffset=0 ti=128 vIdx=0 rIdx=5 oIdx=0 buffer=2 iui=0
_ds_load_u8_d16_hi v129, v[vgprLocalReadAddrA] offset:9728 // L -> Reg lro=8192 swapByteOffset=0 ti=128 vIdx=0 rIdx=6 oIdx=0 buffer=2 iui=0
_ds_load_u8_d16_hi v130, v[vgprLocalReadAddrA] offset:9984 // L -> Reg lro=8192 swapByteOffset=0 ti=128 vIdx=0 rIdx=7 oIdx=0 buffer=2 iui=0
v_mfma_f32_32x32x16_fp8_fp8 a[16+0:31+0], v[vgprValuA_X1_I0+2+0+0:vgprValuA_X1_I0+2+0+0+1], v[vgprValuB_X0_I0+0+2+0:vgprValuB_X0_I0+0+2+0+1], a[16:31]
/*  mfmaIndex:18  */
_ds_load_u8 v131, v[vgprLocalReadAddrA] offset:8576 // L -> Reg lro=8192 swapByteOffset=0 ti=128 vIdx=1 rIdx=1 oIdx=0 buffer=2 iui=0
_ds_load_u8_d16_hi v132, v[vgprLocalReadAddrA] offset:8832 // L -> Reg lro=8192 swapByteOffset=0 ti=128 vIdx=1 rIdx=2 oIdx=0 buffer=2 iui=0
_ds_load_u8_d16_hi v133, v[vgprLocalReadAddrA] offset:9088 // L -> Reg lro=8192 swapByteOffset=0 ti=128 vIdx=1 rIdx=3 oIdx=0 buffer=2 iui=0
	;; [unrolled: 5-line block ×3, first 2 shown]
v_mfma_f32_32x32x16_fp8_fp8 a[32+0:47+0], v[vgprValuA_X1_I0+0+0+0:vgprValuA_X1_I0+0+0+0+1], v[vgprValuB_X0_I0+4+2+0:vgprValuB_X0_I0+4+2+0+1], a[32:47]
/*  mfmaIndex:20  */
/* localReadsVacancy: latencyLeft 6 */
v_mfma_f32_32x32x16_fp8_fp8 a[64+0:79+0], v[vgprValuA_X1_I0+0+0+0:vgprValuA_X1_I0+0+0+0+1], v[vgprValuB_X0_I0+8+2+0:vgprValuB_X0_I0+8+2+0+1], a[64:79]
/*  mfmaIndex:21  */
/* localReadsVacancy: latencyLeft 6 */
	;; [unrolled: 3-line block ×12, first 2 shown]
v_mfma_f32_32x32x16_fp8_fp8 a[224+0:239+0], v[vgprValuA_X1_I0+0+0+0:vgprValuA_X1_I0+0+0+0+1], v[vgprValuB_X0_I0+28+2+0:vgprValuB_X0_I0+28+2+0+1], a[224:239]
/* numPrefetchIter=0 */
/* dataAtIterA=0 numReadsIterA=2 skipReadsIterA=1 readsPerIterA=16 */
/* dataAtIterB=-1 numReadsIterB=1 skipReadsIterB=0 readsPerIterB=8 */


/* iter 2 (reset local read pointers iteration)  (swap and reset local write pointers iteration)  (swap local read pointers iteration)  */

/*  grEndMfmaIndex:6, lwStartMfmaIndex:37, lwEndMfmaIndex:47  */
/*  numMfmaForLR:15, barrierMfmaIndex:48, LocalWritePerMfma:0.730 */
/*  mfmaIndex:32  */
_ds_load_u8 v137, v[vgprLocalReadAddrA] offset:10496 // L -> Reg lro=10240 swapByteOffset=0 ti=128 vIdx=0 rIdx=1 oIdx=0 buffer=3 iui=0
_ds_load_u8_d16_hi v138, v[vgprLocalReadAddrA] offset:10752 // L -> Reg lro=10240 swapByteOffset=0 ti=128 vIdx=0 rIdx=2 oIdx=0 buffer=3 iui=0
_ds_load_u8_d16_hi v139, v[vgprLocalReadAddrA] offset:11008 // L -> Reg lro=10240 swapByteOffset=0 ti=128 vIdx=0 rIdx=3 oIdx=0 buffer=3 iui=0
s_waitcnt lgkmcnt(3)                               // lgkmcnt=0 vmcnt=-1wait for prior local read local write old=0, new=3 newLW=0 newLR=3
/* pack scheduling: packAIdx:6, packBIdx:0 */
_v_lshl_or_b32 v[vgprValuA_X2_I0+0], v125, 0x8, v[vgprValuA_X2_I0+0] // pack two int8 Vgpr to one half Vgpr
_v_lshl_or_b32 v126, v127, 0x8, v126               // pack two int8 Vgpr to one half Vgpr
v_or_b32 v[vgprValuA_X2_I0+0], v[vgprValuA_X2_I0+0], v126 // pack two half Vgpr to one Vgpr
_v_lshl_or_b32 v[vgprValuA_X2_I0+1], v128, 0x8, v[vgprValuA_X2_I0+1] // pack two int8 Vgpr to one half Vgpr
_v_lshl_or_b32 v129, v130, 0x8, v129               // pack two int8 Vgpr to one half Vgpr
v_or_b32 v[vgprValuA_X2_I0+1], v[vgprValuA_X2_I0+1], v129 // pack two half Vgpr to one Vgpr
	;; [unrolled: 3-line block ×4, first 2 shown]
v_mfma_f32_32x32x16_fp8_fp8 a[0+0:15+0], v[vgprValuA_X2_I0+0+0+0:vgprValuA_X2_I0+0+0+0+1], v[vgprValuB_X2_I0+0+0+0:vgprValuB_X2_I0+0+0+0+1], a[0:15]
/*  mfmaIndex:33  */
_ds_load_u8 v140, v[vgprLocalReadAddrA] offset:11520 // L -> Reg lro=10240 swapByteOffset=0 ti=128 vIdx=0 rIdx=5 oIdx=0 buffer=3 iui=0
_ds_load_u8_d16_hi v141, v[vgprLocalReadAddrA] offset:11776 // L -> Reg lro=10240 swapByteOffset=0 ti=128 vIdx=0 rIdx=6 oIdx=0 buffer=3 iui=0
_ds_load_u8_d16_hi v142, v[vgprLocalReadAddrA] offset:12032 // L -> Reg lro=10240 swapByteOffset=0 ti=128 vIdx=0 rIdx=7 oIdx=0 buffer=3 iui=0
v_mfma_f32_32x32x16_fp8_fp8 a[16+0:31+0], v[vgprValuA_X2_I0+2+0+0:vgprValuA_X2_I0+2+0+0+1], v[vgprValuB_X2_I0+0+0+0:vgprValuB_X2_I0+0+0+0+1], a[16:31]
/*  mfmaIndex:34  */
_ds_load_u8 v143, v[vgprLocalReadAddrA] offset:10624 // L -> Reg lro=10240 swapByteOffset=0 ti=128 vIdx=1 rIdx=1 oIdx=0 buffer=3 iui=0
_ds_load_u8_d16_hi v144, v[vgprLocalReadAddrA] offset:10880 // L -> Reg lro=10240 swapByteOffset=0 ti=128 vIdx=1 rIdx=2 oIdx=0 buffer=3 iui=0
_ds_load_u8_d16_hi v145, v[vgprLocalReadAddrA] offset:11136 // L -> Reg lro=10240 swapByteOffset=0 ti=128 vIdx=1 rIdx=3 oIdx=0 buffer=3 iui=0
	;; [unrolled: 5-line block ×3, first 2 shown]
v_mfma_f32_32x32x16_fp8_fp8 a[32+0:47+0], v[vgprValuA_X2_I0+0+0+0:vgprValuA_X2_I0+0+0+0+1], v[vgprValuB_X2_I0+4+0+0:vgprValuB_X2_I0+4+0+0+1], a[32:47]
/*  mfmaIndex:36  */
/* localReadsVacancy: latencyLeft 6 */
/* 1 LDS buffer: read-sync-write */
s_waitcnt lgkmcnt(0)                               // 
s_barrier                                          // 
v_mfma_f32_32x32x16_fp8_fp8 a[64+0:79+0], v[vgprValuA_X2_I0+0+0+0:vgprValuA_X2_I0+0+0+0+1], v[vgprValuB_X2_I0+8+0+0:vgprValuB_X2_I0+8+0+0+1], a[64:79]
/*  mfmaIndex:37  */
/* sched write - iter 2 writesPerItem=1 */
s_waitcnt vmcnt(0)                                 // lgkmcnt=-1 vmcnt=0wait for global read before writing to local
_ds_store_b128 v[vgprLocalWriteAddrA], v[vgprG2LA+0:vgprG2LA+0+3] offset:0 // lwoA_0_0_0_0 = (0*LSCA) + (0*LSPA)(*MT0I+PAD) = 0
v_mfma_f32_32x32x16_fp8_fp8 a[80+0:95+0], v[vgprValuA_X2_I0+2+0+0:vgprValuA_X2_I0+2+0+0+1], v[vgprValuB_X2_I0+8+0+0:vgprValuB_X2_I0+8+0+0+1], a[80:95]
/*  mfmaIndex:38  */
/* sched write - iter 2 writesPerItem=1 */
s_waitcnt vmcnt(0)                                 // lgkmcnt=-1 vmcnt=0wait for global read before writing to local
_ds_store_b128 v[vgprLocalWriteAddrA], v[vgprG2LA+4:vgprG2LA+4+3] offset:128 // lwoA_1_0_0_0 = (1*LSCA) + (0*LSPA)(*MT0I+PAD) = 128
v_mfma_f32_32x32x16_fp8_fp8 a[112+0:127+0], v[vgprValuA_X2_I0+2+0+0:vgprValuA_X2_I0+2+0+0+1], v[vgprValuB_X2_I0+12+0+0:vgprValuB_X2_I0+12+0+0+1], a[112:127]
/*  mfmaIndex:39  */
/* sched write - iter 2 writesPerItem=1 */
s_waitcnt vmcnt(0)                                 // lgkmcnt=-1 vmcnt=0wait for global read before writing to local
_ds_store_b128 v[vgprLocalWriteAddrA], v[vgprG2LA+8:vgprG2LA+8+3] offset:8192 // lwoA_0_0_1_0 = (0*LSCA) + (1*LSPA)(*MT0I+PAD) = 8192
v_mfma_f32_32x32x16_fp8_fp8 a[96+0:111+0], v[vgprValuA_X2_I0+0+0+0:vgprValuA_X2_I0+0+0+0+1], v[vgprValuB_X2_I0+12+0+0:vgprValuB_X2_I0+12+0+0+1], a[96:111]
/*  mfmaIndex:40  */
v_mfma_f32_32x32x16_fp8_fp8 a[128+0:143+0], v[vgprValuA_X2_I0+0+0+0:vgprValuA_X2_I0+0+0+0+1], v[vgprValuB_X2_I0+16+0+0:vgprValuB_X2_I0+16+0+0+1], a[128:143]
/*  mfmaIndex:41  */
/* sched write - iter 2 writesPerItem=1 */
s_waitcnt vmcnt(0)                                 // lgkmcnt=-1 vmcnt=0wait for global read before writing to local
_ds_store_b128 v[vgprLocalWriteAddrA], v[vgprG2LA+12:vgprG2LA+12+3] offset:8320 // lwoA_1_0_1_0 = (1*LSCA) + (1*LSPA)(*MT0I+PAD) = 8320
v_mfma_f32_32x32x16_fp8_fp8 a[144+0:159+0], v[vgprValuA_X2_I0+2+0+0:vgprValuA_X2_I0+2+0+0+1], v[vgprValuB_X2_I0+16+0+0:vgprValuB_X2_I0+16+0+0+1], a[144:159]
/*  mfmaIndex:42  */
/* sched write - iter 2 writesPerItem=1 */
s_waitcnt vmcnt(0)                                 // lgkmcnt=-1 vmcnt=0wait for global read before writing to local
_ds_store_b128 v[vgprLocalWriteAddrB], v[vgprG2LB+0:vgprG2LB+0+3] offset:0 // lwoB_0_0_0_0 = (0*LSCB)*(MT1J+PAD) + (0*LSPB) = 0
v_mfma_f32_32x32x16_fp8_fp8 a[176+0:191+0], v[vgprValuA_X2_I0+2+0+0:vgprValuA_X2_I0+2+0+0+1], v[vgprValuB_X2_I0+20+0+0:vgprValuB_X2_I0+20+0+0+1], a[176:191]
/*  mfmaIndex:43  */
/* sched write - iter 2 writesPerItem=1 */
s_waitcnt vmcnt(0)                                 // lgkmcnt=-1 vmcnt=0wait for global read before writing to local
_ds_store_b128 v[vgprLocalWriteAddrB], v[vgprG2LB+4:vgprG2LB+4+3] offset:4608 // lwoB_0_0_1_0 = (0*LSCB)*(MT1J+PAD) + (1*LSPB) = 4608
v_mfma_f32_32x32x16_fp8_fp8 a[160+0:175+0], v[vgprValuA_X2_I0+0+0+0:vgprValuA_X2_I0+0+0+0+1], v[vgprValuB_X2_I0+20+0+0:vgprValuB_X2_I0+20+0+0+1], a[160:175]
/*  mfmaIndex:44  */
v_mfma_f32_32x32x16_fp8_fp8 a[192+0:207+0], v[vgprValuA_X2_I0+0+0+0:vgprValuA_X2_I0+0+0+0+1], v[vgprValuB_X2_I0+24+0+0:vgprValuB_X2_I0+24+0+0+1], a[192:207]
/*  mfmaIndex:45  */
/* sched write - iter 2 writesPerItem=1 */
s_waitcnt vmcnt(0)                                 // lgkmcnt=-1 vmcnt=0wait for global read before writing to local
_ds_store_b128 v[vgprLocalWriteAddrB], v[vgprG2LB+8:vgprG2LB+8+3] offset:9216 // lwoB_0_0_2_0 = (0*LSCB)*(MT1J+PAD) + (2*LSPB) = 9216
v_mfma_f32_32x32x16_fp8_fp8 a[208+0:223+0], v[vgprValuA_X2_I0+2+0+0:vgprValuA_X2_I0+2+0+0+1], v[vgprValuB_X2_I0+24+0+0:vgprValuB_X2_I0+24+0+0+1], a[208:223]
/*  mfmaIndex:46  */
/* sched write - iter 2 writesPerItem=1 */
s_waitcnt vmcnt(0)                                 // lgkmcnt=-1 vmcnt=0wait for global read before writing to local
_ds_store_b128 v[vgprLocalWriteAddrB], v[vgprG2LB+12:vgprG2LB+12+3] offset:13824 // lwoB_0_0_3_0 = (0*LSCB)*(MT1J+PAD) + (3*LSPB) = 13824
v_mfma_f32_32x32x16_fp8_fp8 a[240+0:255+0], v[vgprValuA_X2_I0+2+0+0:vgprValuA_X2_I0+2+0+0+1], v[vgprValuB_X2_I0+28+0+0:vgprValuB_X2_I0+28+0+0+1], a[240:255]
/*  mfmaIndex:47  */

/* local write swap offsets a */

/* local write swap offsets b */

/* local read swap offsets a */

/* local read swap offsets b */

/* local read init pointers a */

/* localReadInitPointers */

/* local read init pointers b */

/* localReadInitPointers */
v_mfma_f32_32x32x16_fp8_fp8 a[224+0:239+0], v[vgprValuA_X2_I0+0+0+0:vgprValuA_X2_I0+0+0+0+1], v[vgprValuB_X2_I0+28+0+0:vgprValuB_X2_I0+28+0+0+1], a[224:239]
/* numPrefetchIter=0 */
/* dataAtIterA=1 numReadsIterA=3 skipReadsIterA=1 readsPerIterA=16 */
/* dataAtIterB=0 numReadsIterB=1 skipReadsIterB=0 readsPerIterB=8 */


/* iter 3 */

/*  grEndMfmaIndex:6, lwStartMfmaIndex:37, lwEndMfmaIndex:47  */
/*  numMfmaForLR:15, barrierMfmaIndex:48, LocalWritePerMfma:0.730 */
/*  mfmaIndex:48  */
s_waitcnt lgkmcnt(0)                               // lgkmcnt=0 vmcnt=-13wait for local write
// Skip force waitcnt0
s_barrier //
/* pack scheduling: packAIdx:6, packBIdx:0 */
_v_lshl_or_b32 v[vgprValuA_X3_I0+0], v137, 0x8, v[vgprValuA_X3_I0+0] // pack two int8 Vgpr to one half Vgpr
_v_lshl_or_b32 v138, v139, 0x8, v138               // pack two int8 Vgpr to one half Vgpr
v_or_b32 v[vgprValuA_X3_I0+0], v[vgprValuA_X3_I0+0], v138 // pack two half Vgpr to one Vgpr
_v_lshl_or_b32 v[vgprValuA_X3_I0+1], v140, 0x8, v[vgprValuA_X3_I0+1] // pack two int8 Vgpr to one half Vgpr
_v_lshl_or_b32 v141, v142, 0x8, v141               // pack two int8 Vgpr to one half Vgpr
v_or_b32 v[vgprValuA_X3_I0+1], v[vgprValuA_X3_I0+1], v141 // pack two half Vgpr to one Vgpr
	;; [unrolled: 3-line block ×4, first 2 shown]
v_mfma_f32_32x32x16_fp8_fp8 a[0+0:15+0], v[vgprValuA_X3_I0+0+0+0:vgprValuA_X3_I0+0+0+0+1], v[vgprValuB_X2_I0+0+2+0:vgprValuB_X2_I0+0+2+0+1], a[0:15]
/*  mfmaIndex:49  */
_ds_load_u8 v[vgprValuA_X0_I0+0], v[vgprLocalReadAddrA] offset:0 // L -> Reg lro=0 swapByteOffset=0 ti=128 vIdx=0 rIdx=0 oIdx=0 buffer=0 iui=0
_ds_load_u8 v125, v[vgprLocalReadAddrA] offset:256 // L -> Reg lro=0 swapByteOffset=0 ti=128 vIdx=0 rIdx=1 oIdx=0 buffer=0 iui=0
_ds_load_u8_d16_hi v126, v[vgprLocalReadAddrA] offset:512 // L -> Reg lro=0 swapByteOffset=0 ti=128 vIdx=0 rIdx=2 oIdx=0 buffer=0 iui=0
v_mfma_f32_32x32x16_fp8_fp8 a[16+0:31+0], v[vgprValuA_X3_I0+2+0+0:vgprValuA_X3_I0+2+0+0+1], v[vgprValuB_X2_I0+0+2+0:vgprValuB_X2_I0+0+2+0+1], a[16:31]
/*  mfmaIndex:50  */
_ds_load_u8_d16_hi v127, v[vgprLocalReadAddrA] offset:768 // L -> Reg lro=0 swapByteOffset=0 ti=128 vIdx=0 rIdx=3 oIdx=0 buffer=0 iui=0
_ds_load_u8 v[vgprValuA_X0_I0+1], v[vgprLocalReadAddrA] offset:1024 // L -> Reg lro=0 swapByteOffset=0 ti=128 vIdx=0 rIdx=4 oIdx=0 buffer=0 iui=0
_ds_load_u8 v128, v[vgprLocalReadAddrA] offset:1280 // L -> Reg lro=0 swapByteOffset=0 ti=128 vIdx=0 rIdx=5 oIdx=0 buffer=0 iui=0
v_mfma_f32_32x32x16_fp8_fp8 a[48+0:63+0], v[vgprValuA_X3_I0+2+0+0:vgprValuA_X3_I0+2+0+0+1], v[vgprValuB_X2_I0+4+2+0:vgprValuB_X2_I0+4+2+0+1], a[48:63]
/*  mfmaIndex:51  */
_ds_load_u8_d16_hi v129, v[vgprLocalReadAddrA] offset:1536 // L -> Reg lro=0 swapByteOffset=0 ti=128 vIdx=0 rIdx=6 oIdx=0 buffer=0 iui=0
_ds_load_u8_d16_hi v130, v[vgprLocalReadAddrA] offset:1792 // L -> Reg lro=0 swapByteOffset=0 ti=128 vIdx=0 rIdx=7 oIdx=0 buffer=0 iui=0
v_mfma_f32_32x32x16_fp8_fp8 a[32+0:47+0], v[vgprValuA_X3_I0+0+0+0:vgprValuA_X3_I0+0+0+0+1], v[vgprValuB_X2_I0+4+2+0:vgprValuB_X2_I0+4+2+0+1], a[32:47]
/*  mfmaIndex:52  */
_ds_load_b128 v[vgprValuB_X0_I0+0:vgprValuB_X0_I0+0+3], v[vgprLocalReadAddrB] offset:0 // L -> Reg lro=0 swapByteOffset=0 ti=32 vIdx=0 rIdx=0 oIdx=0 buffer=0 iui=0
_ds_load_u8 v[vgprValuA_X0_I0+2], v[vgprLocalReadAddrA] offset:128 // L -> Reg lro=0 swapByteOffset=0 ti=128 vIdx=1 rIdx=0 oIdx=0 buffer=0 iui=0
v_mfma_f32_32x32x16_fp8_fp8 a[64+0:79+0], v[vgprValuA_X3_I0+0+0+0:vgprValuA_X3_I0+0+0+0+1], v[vgprValuB_X2_I0+8+2+0:vgprValuB_X2_I0+8+2+0+1], a[64:79]
/*  mfmaIndex:53  */
_ds_load_u8 v131, v[vgprLocalReadAddrA] offset:384 // L -> Reg lro=0 swapByteOffset=0 ti=128 vIdx=1 rIdx=1 oIdx=0 buffer=0 iui=0
_ds_load_u8_d16_hi v132, v[vgprLocalReadAddrA] offset:640 // L -> Reg lro=0 swapByteOffset=0 ti=128 vIdx=1 rIdx=2 oIdx=0 buffer=0 iui=0
_ds_load_u8_d16_hi v133, v[vgprLocalReadAddrA] offset:896 // L -> Reg lro=0 swapByteOffset=0 ti=128 vIdx=1 rIdx=3 oIdx=0 buffer=0 iui=0
v_mfma_f32_32x32x16_fp8_fp8 a[80+0:95+0], v[vgprValuA_X3_I0+2+0+0:vgprValuA_X3_I0+2+0+0+1], v[vgprValuB_X2_I0+8+2+0:vgprValuB_X2_I0+8+2+0+1], a[80:95]
/*  mfmaIndex:54  */
_ds_load_u8 v[vgprValuA_X0_I0+3], v[vgprLocalReadAddrA] offset:1152 // L -> Reg lro=0 swapByteOffset=0 ti=128 vIdx=1 rIdx=4 oIdx=0 buffer=0 iui=0
_ds_load_u8 v134, v[vgprLocalReadAddrA] offset:1408 // L -> Reg lro=0 swapByteOffset=0 ti=128 vIdx=1 rIdx=5 oIdx=0 buffer=0 iui=0
_ds_load_u8_d16_hi v135, v[vgprLocalReadAddrA] offset:1664 // L -> Reg lro=0 swapByteOffset=0 ti=128 vIdx=1 rIdx=6 oIdx=0 buffer=0 iui=0
v_mfma_f32_32x32x16_fp8_fp8 a[112+0:127+0], v[vgprValuA_X3_I0+2+0+0:vgprValuA_X3_I0+2+0+0+1], v[vgprValuB_X2_I0+12+2+0:vgprValuB_X2_I0+12+2+0+1], a[112:127]
/*  mfmaIndex:55  */
_ds_load_u8_d16_hi v136, v[vgprLocalReadAddrA] offset:1920 // L -> Reg lro=0 swapByteOffset=0 ti=128 vIdx=1 rIdx=7 oIdx=0 buffer=0 iui=0
_ds_load_b128 v[vgprValuB_X0_I0+4:vgprValuB_X0_I0+4+3], v[vgprLocalReadAddrB] offset:2304 // L -> Reg lro=0 swapByteOffset=0 ti=32 vIdx=1 rIdx=0 oIdx=0 buffer=0 iui=0
v_mfma_f32_32x32x16_fp8_fp8 a[96+0:111+0], v[vgprValuA_X3_I0+0+0+0:vgprValuA_X3_I0+0+0+0+1], v[vgprValuB_X2_I0+12+2+0:vgprValuB_X2_I0+12+2+0+1], a[96:111]
/*  mfmaIndex:56  */
_ds_load_b128 v[vgprValuB_X0_I0+8:vgprValuB_X0_I0+8+3], v[vgprLocalReadAddrB] offset:4608 // L -> Reg lro=0 swapByteOffset=0 ti=32 vIdx=2 rIdx=0 oIdx=0 buffer=0 iui=0
_ds_load_b128 v[vgprValuB_X0_I0+12:vgprValuB_X0_I0+12+3], v[vgprLocalReadAddrB] offset:6912 // L -> Reg lro=0 swapByteOffset=0 ti=32 vIdx=3 rIdx=0 oIdx=0 buffer=0 iui=0
v_mfma_f32_32x32x16_fp8_fp8 a[128+0:143+0], v[vgprValuA_X3_I0+0+0+0:vgprValuA_X3_I0+0+0+0+1], v[vgprValuB_X2_I0+16+2+0:vgprValuB_X2_I0+16+2+0+1], a[128:143]
/*  mfmaIndex:57  */
_ds_load_b128 v[vgprValuB_X0_I0+16:vgprValuB_X0_I0+16+3], v[vgprLocalReadAddrB] offset:9216 // L -> Reg lro=0 swapByteOffset=0 ti=32 vIdx=4 rIdx=0 oIdx=0 buffer=0 iui=0
	;; [unrolled: 4-line block ×3, first 2 shown]
v_mfma_f32_32x32x16_fp8_fp8 a[176+0:191+0], v[vgprValuA_X3_I0+2+0+0:vgprValuA_X3_I0+2+0+0+1], v[vgprValuB_X2_I0+20+2+0:vgprValuB_X2_I0+20+2+0+1], a[176:191]
/*  mfmaIndex:59  */
_ds_load_b128 v[vgprValuB_X0_I0+28:vgprValuB_X0_I0+28+3], v[vgprLocalReadAddrB] offset:16128 // L -> Reg lro=0 swapByteOffset=0 ti=32 vIdx=7 rIdx=0 oIdx=0 buffer=0 iui=0
v_mfma_f32_32x32x16_fp8_fp8 a[160+0:175+0], v[vgprValuA_X3_I0+0+0+0:vgprValuA_X3_I0+0+0+0+1], v[vgprValuB_X2_I0+20+2+0:vgprValuB_X2_I0+20+2+0+1], a[160:175]
/*  mfmaIndex:60  */
v_mfma_f32_32x32x16_fp8_fp8 a[192+0:207+0], v[vgprValuA_X3_I0+0+0+0:vgprValuA_X3_I0+0+0+0+1], v[vgprValuB_X2_I0+24+2+0:vgprValuB_X2_I0+24+2+0+1], a[192:207]
/*  mfmaIndex:61  */
	;; [unrolled: 2-line block ×4, first 2 shown]
v_mfma_f32_32x32x16_fp8_fp8 a[224+0:239+0], v[vgprValuA_X3_I0+0+0+0:vgprValuA_X3_I0+0+0+0+1], v[vgprValuB_X2_I0+28+2+0:vgprValuB_X2_I0+28+2+0+1], a[224:239]

label_0014:


/******************************************/
/* Opt. NoLoadLoop Without PAP - Begin                                      */
/******************************************/

s_cmpk_eq_u32 s[sgprBeta], 0x0                     // Beta == 0
s_cbranch_scc0 OptNLL_End_17                       // Branch if Beta is not zero

s_cmp_eq_u32 s[sgprAlpha], 1.0                     // Alpha == 1.0 ?
s_cbranch_scc0 OptNLL_End_17                       // branch if alpha != 1

s_and_b32 s56, 255, s[sgprSizeI]                   // s56 = s[sgprSizeI] % 256
s_add_u32 s57, -0x1, s[sgprNumWorkGroups0]         // 
s_cmp_ge_u32 s[sgprWorkGroup0], s57                // wg0 >= nwg0-1 ?
s_cselect_b32 s56, s56, 0                          // set rMT0
s_cmpk_gt_u32 s56, 0x0                             // rMT0 > 0
s_cbranch_scc1 OptNLL_End_17                       // jump if edges required
s_and_b32 s56, 255, s[sgprSizeJ]                   // s56 = s[sgprSizeJ] % 256
s_add_u32 s57, -0x1, s[sgprNumWorkGroups1]         // 
s_cmp_ge_u32 s[sgprWorkGroup1], s57                // wg1 >= nwg1-1
s_cselect_b32 s56, s56, 0                          // set rMT1
s_cmpk_gt_u32 s56, 0x0                             // rMT1 > 0
s_cbranch_scc1 OptNLL_End_17                       // jump if edges required

s_and_b32 s57, 63, s[sgprSizesSum+0]               // s57 = s[sgprSizesSum+0] % 64
s_cmp_eq_u32 s57, 0x0                              // numIterL == 0
s_cbranch_scc0 OptNLL_End_17                       // skip if tail loop required


	;; [unrolled: 1-line block ×3, first 2 shown]
/* iter 0 (last unrolled loop) */

/*  grEndMfmaIndex:0, lwStartMfmaIndex:47, lwEndMfmaIndex:47  */
/*  numMfmaForLR:15, barrierMfmaIndex:48, LocalWritePerMfma:0.730 */
/*  mfmaIndex:0  */
s_waitcnt lgkmcnt(0)                               // lgkmcnt=0 vmcnt=-1wait for prior local read local write old=0, new=0 newLW=0 newLR=0
/* pack scheduling: packAIdx:6, packBIdx:0 */
_v_lshl_or_b32 v[vgprValuA_X0_I0+0], v125, 0x8, v[vgprValuA_X0_I0+0] // pack two int8 Vgpr to one half Vgpr
_v_lshl_or_b32 v126, v127, 0x8, v126               // pack two int8 Vgpr to one half Vgpr
v_or_b32 v[vgprValuA_X0_I0+0], v[vgprValuA_X0_I0+0], v126 // pack two half Vgpr to one Vgpr
_v_lshl_or_b32 v[vgprValuA_X0_I0+1], v128, 0x8, v[vgprValuA_X0_I0+1] // pack two int8 Vgpr to one half Vgpr
_v_lshl_or_b32 v129, v130, 0x8, v129               // pack two int8 Vgpr to one half Vgpr
v_or_b32 v[vgprValuA_X0_I0+1], v[vgprValuA_X0_I0+1], v129 // pack two half Vgpr to one Vgpr
	;; [unrolled: 3-line block ×4, first 2 shown]
v_mfma_f32_32x32x16_fp8_fp8 a[0+0:15+0], v[vgprValuA_X0_I0+0+0+0:vgprValuA_X0_I0+0+0+0+1], v[vgprValuB_X0_I0+0+0+0:vgprValuB_X0_I0+0+0+0+1], a[0:15]
/*  mfmaIndex:1  */
_ds_load_u8 v[vgprValuA_X1_I0+0], v[vgprLocalReadAddrA] offset:2048 // L -> Reg lro=2048 swapByteOffset=0 ti=128 vIdx=0 rIdx=0 oIdx=0 buffer=1 iui=0
_ds_load_u8 v137, v[vgprLocalReadAddrA] offset:2304 // L -> Reg lro=2048 swapByteOffset=0 ti=128 vIdx=0 rIdx=1 oIdx=0 buffer=1 iui=0
_ds_load_u8_d16_hi v138, v[vgprLocalReadAddrA] offset:2560 // L -> Reg lro=2048 swapByteOffset=0 ti=128 vIdx=0 rIdx=2 oIdx=0 buffer=1 iui=0
v_mfma_f32_32x32x16_fp8_fp8 a[16+0:31+0], v[vgprValuA_X0_I0+2+0+0:vgprValuA_X0_I0+2+0+0+1], v[vgprValuB_X0_I0+0+0+0:vgprValuB_X0_I0+0+0+0+1], a[16:31]
/*  mfmaIndex:2  */
_ds_load_u8_d16_hi v139, v[vgprLocalReadAddrA] offset:2816 // L -> Reg lro=2048 swapByteOffset=0 ti=128 vIdx=0 rIdx=3 oIdx=0 buffer=1 iui=0
_ds_load_u8 v[vgprValuA_X1_I0+1], v[vgprLocalReadAddrA] offset:3072 // L -> Reg lro=2048 swapByteOffset=0 ti=128 vIdx=0 rIdx=4 oIdx=0 buffer=1 iui=0
_ds_load_u8 v140, v[vgprLocalReadAddrA] offset:3328 // L -> Reg lro=2048 swapByteOffset=0 ti=128 vIdx=0 rIdx=5 oIdx=0 buffer=1 iui=0
v_mfma_f32_32x32x16_fp8_fp8 a[48+0:63+0], v[vgprValuA_X0_I0+2+0+0:vgprValuA_X0_I0+2+0+0+1], v[vgprValuB_X0_I0+4+0+0:vgprValuB_X0_I0+4+0+0+1], a[48:63]
/*  mfmaIndex:3  */
_ds_load_u8_d16_hi v141, v[vgprLocalReadAddrA] offset:3584 // L -> Reg lro=2048 swapByteOffset=0 ti=128 vIdx=0 rIdx=6 oIdx=0 buffer=1 iui=0
_ds_load_u8_d16_hi v142, v[vgprLocalReadAddrA] offset:3840 // L -> Reg lro=2048 swapByteOffset=0 ti=128 vIdx=0 rIdx=7 oIdx=0 buffer=1 iui=0
v_mfma_f32_32x32x16_fp8_fp8 a[32+0:47+0], v[vgprValuA_X0_I0+0+0+0:vgprValuA_X0_I0+0+0+0+1], v[vgprValuB_X0_I0+4+0+0:vgprValuB_X0_I0+4+0+0+1], a[32:47]
/*  mfmaIndex:4  */
_ds_load_b128 v[vgprValuB_X2_I0+0:vgprValuB_X2_I0+0+3], v[vgprLocalReadAddrB] offset:32 // L -> Reg lro=32 swapByteOffset=0 ti=32 vIdx=0 rIdx=0 oIdx=0 buffer=2 iui=0
_ds_load_u8 v[vgprValuA_X1_I0+2], v[vgprLocalReadAddrA] offset:2176 // L -> Reg lro=2048 swapByteOffset=0 ti=128 vIdx=1 rIdx=0 oIdx=0 buffer=1 iui=0
v_mfma_f32_32x32x16_fp8_fp8 a[64+0:79+0], v[vgprValuA_X0_I0+0+0+0:vgprValuA_X0_I0+0+0+0+1], v[vgprValuB_X0_I0+8+0+0:vgprValuB_X0_I0+8+0+0+1], a[64:79]
/*  mfmaIndex:5  */
_ds_load_u8 v143, v[vgprLocalReadAddrA] offset:2432 // L -> Reg lro=2048 swapByteOffset=0 ti=128 vIdx=1 rIdx=1 oIdx=0 buffer=1 iui=0
_ds_load_u8_d16_hi v144, v[vgprLocalReadAddrA] offset:2688 // L -> Reg lro=2048 swapByteOffset=0 ti=128 vIdx=1 rIdx=2 oIdx=0 buffer=1 iui=0
_ds_load_u8_d16_hi v145, v[vgprLocalReadAddrA] offset:2944 // L -> Reg lro=2048 swapByteOffset=0 ti=128 vIdx=1 rIdx=3 oIdx=0 buffer=1 iui=0
v_mfma_f32_32x32x16_fp8_fp8 a[80+0:95+0], v[vgprValuA_X0_I0+2+0+0:vgprValuA_X0_I0+2+0+0+1], v[vgprValuB_X0_I0+8+0+0:vgprValuB_X0_I0+8+0+0+1], a[80:95]
/*  mfmaIndex:6  */
_ds_load_u8 v[vgprValuA_X1_I0+3], v[vgprLocalReadAddrA] offset:3200 // L -> Reg lro=2048 swapByteOffset=0 ti=128 vIdx=1 rIdx=4 oIdx=0 buffer=1 iui=0
_ds_load_u8 v146, v[vgprLocalReadAddrA] offset:3456 // L -> Reg lro=2048 swapByteOffset=0 ti=128 vIdx=1 rIdx=5 oIdx=0 buffer=1 iui=0
_ds_load_u8_d16_hi v147, v[vgprLocalReadAddrA] offset:3712 // L -> Reg lro=2048 swapByteOffset=0 ti=128 vIdx=1 rIdx=6 oIdx=0 buffer=1 iui=0
v_mfma_f32_32x32x16_fp8_fp8 a[112+0:127+0], v[vgprValuA_X0_I0+2+0+0:vgprValuA_X0_I0+2+0+0+1], v[vgprValuB_X0_I0+12+0+0:vgprValuB_X0_I0+12+0+0+1], a[112:127]
/*  mfmaIndex:7  */
_ds_load_u8_d16_hi v148, v[vgprLocalReadAddrA] offset:3968 // L -> Reg lro=2048 swapByteOffset=0 ti=128 vIdx=1 rIdx=7 oIdx=0 buffer=1 iui=0
_ds_load_b128 v[vgprValuB_X2_I0+4:vgprValuB_X2_I0+4+3], v[vgprLocalReadAddrB] offset:2336 // L -> Reg lro=32 swapByteOffset=0 ti=32 vIdx=1 rIdx=0 oIdx=0 buffer=2 iui=0
v_mfma_f32_32x32x16_fp8_fp8 a[96+0:111+0], v[vgprValuA_X0_I0+0+0+0:vgprValuA_X0_I0+0+0+0+1], v[vgprValuB_X0_I0+12+0+0:vgprValuB_X0_I0+12+0+0+1], a[96:111]
/*  mfmaIndex:8  */
_ds_load_b128 v[vgprValuB_X2_I0+8:vgprValuB_X2_I0+8+3], v[vgprLocalReadAddrB] offset:4640 // L -> Reg lro=32 swapByteOffset=0 ti=32 vIdx=2 rIdx=0 oIdx=0 buffer=2 iui=0
_ds_load_b128 v[vgprValuB_X2_I0+12:vgprValuB_X2_I0+12+3], v[vgprLocalReadAddrB] offset:6944 // L -> Reg lro=32 swapByteOffset=0 ti=32 vIdx=3 rIdx=0 oIdx=0 buffer=2 iui=0
v_mfma_f32_32x32x16_fp8_fp8 a[128+0:143+0], v[vgprValuA_X0_I0+0+0+0:vgprValuA_X0_I0+0+0+0+1], v[vgprValuB_X0_I0+16+0+0:vgprValuB_X0_I0+16+0+0+1], a[128:143]
/*  mfmaIndex:9  */
_ds_load_b128 v[vgprValuB_X2_I0+16:vgprValuB_X2_I0+16+3], v[vgprLocalReadAddrB] offset:9248 // L -> Reg lro=32 swapByteOffset=0 ti=32 vIdx=4 rIdx=0 oIdx=0 buffer=2 iui=0
	;; [unrolled: 4-line block ×3, first 2 shown]
v_mfma_f32_32x32x16_fp8_fp8 a[176+0:191+0], v[vgprValuA_X0_I0+2+0+0:vgprValuA_X0_I0+2+0+0+1], v[vgprValuB_X0_I0+20+0+0:vgprValuB_X0_I0+20+0+0+1], a[176:191]
/*  mfmaIndex:11  */
_ds_load_b128 v[vgprValuB_X2_I0+28:vgprValuB_X2_I0+28+3], v[vgprLocalReadAddrB] offset:16160 // L -> Reg lro=32 swapByteOffset=0 ti=32 vIdx=7 rIdx=0 oIdx=0 buffer=2 iui=0
/* localReadsVacancy: latencyLeft 2 */
_ds_load_u8 v[vgprValuA_X2_I0+0], v[vgprLocalReadAddrA] offset:8192 // L -> Reg lro=8192 swapByteOffset=0 ti=128 vIdx=0 rIdx=0 oIdx=0 buffer=2 iui=0
v_mfma_f32_32x32x16_fp8_fp8 a[160+0:175+0], v[vgprValuA_X0_I0+0+0+0:vgprValuA_X0_I0+0+0+0+1], v[vgprValuB_X0_I0+20+0+0:vgprValuB_X0_I0+20+0+0+1], a[160:175]
/*  mfmaIndex:12  */
/* localReadsVacancy: latencyLeft 6 */
_ds_load_u8 v[vgprValuA_X2_I0+1], v[vgprLocalReadAddrA] offset:9216 // L -> Reg lro=8192 swapByteOffset=0 ti=128 vIdx=0 rIdx=4 oIdx=0 buffer=2 iui=0
_ds_load_u8 v[vgprValuA_X2_I0+2], v[vgprLocalReadAddrA] offset:8320 // L -> Reg lro=8192 swapByteOffset=0 ti=128 vIdx=1 rIdx=0 oIdx=0 buffer=2 iui=0
	;; [unrolled: 1-line block ×3, first 2 shown]
v_mfma_f32_32x32x16_fp8_fp8 a[192+0:207+0], v[vgprValuA_X0_I0+0+0+0:vgprValuA_X0_I0+0+0+0+1], v[vgprValuB_X0_I0+24+0+0:vgprValuB_X0_I0+24+0+0+1], a[192:207]
/*  mfmaIndex:13  */
/* localReadsVacancy: latencyLeft 6 */
_ds_load_u8 v[vgprValuA_X3_I0+0], v[vgprLocalReadAddrA] offset:10240 // L -> Reg lro=10240 swapByteOffset=0 ti=128 vIdx=0 rIdx=0 oIdx=0 buffer=3 iui=0
_ds_load_u8 v[vgprValuA_X3_I0+1], v[vgprLocalReadAddrA] offset:11264 // L -> Reg lro=10240 swapByteOffset=0 ti=128 vIdx=0 rIdx=4 oIdx=0 buffer=3 iui=0
	;; [unrolled: 1-line block ×3, first 2 shown]
v_mfma_f32_32x32x16_fp8_fp8 a[208+0:223+0], v[vgprValuA_X0_I0+2+0+0:vgprValuA_X0_I0+2+0+0+1], v[vgprValuB_X0_I0+24+0+0:vgprValuB_X0_I0+24+0+0+1], a[208:223]
/*  mfmaIndex:14  */
/* localReadsVacancy: latencyLeft 6 */
_ds_load_u8 v[vgprValuA_X3_I0+3], v[vgprLocalReadAddrA] offset:11392 // L -> Reg lro=10240 swapByteOffset=0 ti=128 vIdx=1 rIdx=4 oIdx=0 buffer=3 iui=0
v_mfma_f32_32x32x16_fp8_fp8 a[240+0:255+0], v[vgprValuA_X0_I0+2+0+0:vgprValuA_X0_I0+2+0+0+1], v[vgprValuB_X0_I0+28+0+0:vgprValuB_X0_I0+28+0+0+1], a[240:255]
/*  mfmaIndex:15  */
/* localReadsVacancy: latencyLeft 6 */
v_mfma_f32_32x32x16_fp8_fp8 a[224+0:239+0], v[vgprValuA_X0_I0+0+0+0:vgprValuA_X0_I0+0+0+0+1], v[vgprValuB_X0_I0+28+0+0:vgprValuB_X0_I0+28+0+0+1], a[224:239]
/* numPrefetchIter=0 */
/* dataAtIterA=-1 numReadsIterA=1 skipReadsIterA=1 readsPerIterA=16 */
/* dataAtIterB=-1 numReadsIterB=1 skipReadsIterB=1 readsPerIterB=8 */


/* iter 1 (last unrolled loop) */

/*  grEndMfmaIndex:0, lwStartMfmaIndex:47, lwEndMfmaIndex:47  */
/*  numMfmaForLR:15, barrierMfmaIndex:48, LocalWritePerMfma:0.730 */
/*  mfmaIndex:16  */
_ds_load_u8 v125, v[vgprLocalReadAddrA] offset:8448 // L -> Reg lro=8192 swapByteOffset=0 ti=128 vIdx=0 rIdx=1 oIdx=0 buffer=2 iui=0
_ds_load_u8_d16_hi v126, v[vgprLocalReadAddrA] offset:8704 // L -> Reg lro=8192 swapByteOffset=0 ti=128 vIdx=0 rIdx=2 oIdx=0 buffer=2 iui=0
_ds_load_u8_d16_hi v127, v[vgprLocalReadAddrA] offset:8960 // L -> Reg lro=8192 swapByteOffset=0 ti=128 vIdx=0 rIdx=3 oIdx=0 buffer=2 iui=0
s_waitcnt lgkmcnt(11)                              // lgkmcnt=0 vmcnt=-1wait for prior local read local write old=4, new=7 newLW=0 newLR=3
/* pack scheduling: packAIdx:6, packBIdx:0 */
_v_lshl_or_b32 v[vgprValuA_X1_I0+0], v137, 0x8, v[vgprValuA_X1_I0+0] // pack two int8 Vgpr to one half Vgpr
_v_lshl_or_b32 v138, v139, 0x8, v138               // pack two int8 Vgpr to one half Vgpr
v_or_b32 v[vgprValuA_X1_I0+0], v[vgprValuA_X1_I0+0], v138 // pack two half Vgpr to one Vgpr
_v_lshl_or_b32 v[vgprValuA_X1_I0+1], v140, 0x8, v[vgprValuA_X1_I0+1] // pack two int8 Vgpr to one half Vgpr
_v_lshl_or_b32 v141, v142, 0x8, v141               // pack two int8 Vgpr to one half Vgpr
v_or_b32 v[vgprValuA_X1_I0+1], v[vgprValuA_X1_I0+1], v141 // pack two half Vgpr to one Vgpr
	;; [unrolled: 3-line block ×4, first 2 shown]
v_mfma_f32_32x32x16_fp8_fp8 a[0+0:15+0], v[vgprValuA_X1_I0+0+0+0:vgprValuA_X1_I0+0+0+0+1], v[vgprValuB_X0_I0+0+2+0:vgprValuB_X0_I0+0+2+0+1], a[0:15]
/*  mfmaIndex:17  */
_ds_load_u8 v128, v[vgprLocalReadAddrA] offset:9472 // L -> Reg lro=8192 swapByteOffset=0 ti=128 vIdx=0 rIdx=5 oIdx=0 buffer=2 iui=0
_ds_load_u8_d16_hi v129, v[vgprLocalReadAddrA] offset:9728 // L -> Reg lro=8192 swapByteOffset=0 ti=128 vIdx=0 rIdx=6 oIdx=0 buffer=2 iui=0
_ds_load_u8_d16_hi v130, v[vgprLocalReadAddrA] offset:9984 // L -> Reg lro=8192 swapByteOffset=0 ti=128 vIdx=0 rIdx=7 oIdx=0 buffer=2 iui=0
v_mfma_f32_32x32x16_fp8_fp8 a[16+0:31+0], v[vgprValuA_X1_I0+2+0+0:vgprValuA_X1_I0+2+0+0+1], v[vgprValuB_X0_I0+0+2+0:vgprValuB_X0_I0+0+2+0+1], a[16:31]
/*  mfmaIndex:18  */
_ds_load_u8 v131, v[vgprLocalReadAddrA] offset:8576 // L -> Reg lro=8192 swapByteOffset=0 ti=128 vIdx=1 rIdx=1 oIdx=0 buffer=2 iui=0
_ds_load_u8_d16_hi v132, v[vgprLocalReadAddrA] offset:8832 // L -> Reg lro=8192 swapByteOffset=0 ti=128 vIdx=1 rIdx=2 oIdx=0 buffer=2 iui=0
_ds_load_u8_d16_hi v133, v[vgprLocalReadAddrA] offset:9088 // L -> Reg lro=8192 swapByteOffset=0 ti=128 vIdx=1 rIdx=3 oIdx=0 buffer=2 iui=0
v_mfma_f32_32x32x16_fp8_fp8 a[48+0:63+0], v[vgprValuA_X1_I0+2+0+0:vgprValuA_X1_I0+2+0+0+1], v[vgprValuB_X0_I0+4+2+0:vgprValuB_X0_I0+4+2+0+1], a[48:63]
/*  mfmaIndex:19  */
_ds_load_u8 v134, v[vgprLocalReadAddrA] offset:9600 // L -> Reg lro=8192 swapByteOffset=0 ti=128 vIdx=1 rIdx=5 oIdx=0 buffer=2 iui=0
_ds_load_u8_d16_hi v135, v[vgprLocalReadAddrA] offset:9856 // L -> Reg lro=8192 swapByteOffset=0 ti=128 vIdx=1 rIdx=6 oIdx=0 buffer=2 iui=0
_ds_load_u8_d16_hi v136, v[vgprLocalReadAddrA] offset:10112 // L -> Reg lro=8192 swapByteOffset=0 ti=128 vIdx=1 rIdx=7 oIdx=0 buffer=2 iui=0
v_mfma_f32_32x32x16_fp8_fp8 a[32+0:47+0], v[vgprValuA_X1_I0+0+0+0:vgprValuA_X1_I0+0+0+0+1], v[vgprValuB_X0_I0+4+2+0:vgprValuB_X0_I0+4+2+0+1], a[32:47]
/*  mfmaIndex:20  */
/* localReadsVacancy: latencyLeft 6 */
v_mfma_f32_32x32x16_fp8_fp8 a[64+0:79+0], v[vgprValuA_X1_I0+0+0+0:vgprValuA_X1_I0+0+0+0+1], v[vgprValuB_X0_I0+8+2+0:vgprValuB_X0_I0+8+2+0+1], a[64:79]
/*  mfmaIndex:21  */
/* localReadsVacancy: latencyLeft 6 */
	;; [unrolled: 3-line block ×12, first 2 shown]
v_mfma_f32_32x32x16_fp8_fp8 a[224+0:239+0], v[vgprValuA_X1_I0+0+0+0:vgprValuA_X1_I0+0+0+0+1], v[vgprValuB_X0_I0+28+2+0:vgprValuB_X0_I0+28+2+0+1], a[224:239]
/* numPrefetchIter=0 */
/* dataAtIterA=0 numReadsIterA=2 skipReadsIterA=1 readsPerIterA=16 */
/* dataAtIterB=-1 numReadsIterB=1 skipReadsIterB=0 readsPerIterB=8 */


/* iter 2 (last unrolled loop) */

/*  grEndMfmaIndex:0, lwStartMfmaIndex:47, lwEndMfmaIndex:47  */
/*  numMfmaForLR:15, barrierMfmaIndex:48, LocalWritePerMfma:0.730 */
/*  mfmaIndex:32  */
_ds_load_u8 v137, v[vgprLocalReadAddrA] offset:10496 // L -> Reg lro=10240 swapByteOffset=0 ti=128 vIdx=0 rIdx=1 oIdx=0 buffer=3 iui=0
_ds_load_u8_d16_hi v138, v[vgprLocalReadAddrA] offset:10752 // L -> Reg lro=10240 swapByteOffset=0 ti=128 vIdx=0 rIdx=2 oIdx=0 buffer=3 iui=0
_ds_load_u8_d16_hi v139, v[vgprLocalReadAddrA] offset:11008 // L -> Reg lro=10240 swapByteOffset=0 ti=128 vIdx=0 rIdx=3 oIdx=0 buffer=3 iui=0
s_waitcnt lgkmcnt(3)                               // lgkmcnt=0 vmcnt=-1wait for prior local read local write old=0, new=3 newLW=0 newLR=3
/* pack scheduling: packAIdx:6, packBIdx:0 */
_v_lshl_or_b32 v[vgprValuA_X2_I0+0], v125, 0x8, v[vgprValuA_X2_I0+0] // pack two int8 Vgpr to one half Vgpr
_v_lshl_or_b32 v126, v127, 0x8, v126               // pack two int8 Vgpr to one half Vgpr
v_or_b32 v[vgprValuA_X2_I0+0], v[vgprValuA_X2_I0+0], v126 // pack two half Vgpr to one Vgpr
_v_lshl_or_b32 v[vgprValuA_X2_I0+1], v128, 0x8, v[vgprValuA_X2_I0+1] // pack two int8 Vgpr to one half Vgpr
_v_lshl_or_b32 v129, v130, 0x8, v129               // pack two int8 Vgpr to one half Vgpr
v_or_b32 v[vgprValuA_X2_I0+1], v[vgprValuA_X2_I0+1], v129 // pack two half Vgpr to one Vgpr
	;; [unrolled: 3-line block ×4, first 2 shown]
v_mfma_f32_32x32x16_fp8_fp8 a[0+0:15+0], v[vgprValuA_X2_I0+0+0+0:vgprValuA_X2_I0+0+0+0+1], v[vgprValuB_X2_I0+0+0+0:vgprValuB_X2_I0+0+0+0+1], a[0:15]
/*  mfmaIndex:33  */
_ds_load_u8 v140, v[vgprLocalReadAddrA] offset:11520 // L -> Reg lro=10240 swapByteOffset=0 ti=128 vIdx=0 rIdx=5 oIdx=0 buffer=3 iui=0
_ds_load_u8_d16_hi v141, v[vgprLocalReadAddrA] offset:11776 // L -> Reg lro=10240 swapByteOffset=0 ti=128 vIdx=0 rIdx=6 oIdx=0 buffer=3 iui=0
_ds_load_u8_d16_hi v142, v[vgprLocalReadAddrA] offset:12032 // L -> Reg lro=10240 swapByteOffset=0 ti=128 vIdx=0 rIdx=7 oIdx=0 buffer=3 iui=0
v_mfma_f32_32x32x16_fp8_fp8 a[16+0:31+0], v[vgprValuA_X2_I0+2+0+0:vgprValuA_X2_I0+2+0+0+1], v[vgprValuB_X2_I0+0+0+0:vgprValuB_X2_I0+0+0+0+1], a[16:31]
/*  mfmaIndex:34  */
_ds_load_u8 v143, v[vgprLocalReadAddrA] offset:10624 // L -> Reg lro=10240 swapByteOffset=0 ti=128 vIdx=1 rIdx=1 oIdx=0 buffer=3 iui=0
_ds_load_u8_d16_hi v144, v[vgprLocalReadAddrA] offset:10880 // L -> Reg lro=10240 swapByteOffset=0 ti=128 vIdx=1 rIdx=2 oIdx=0 buffer=3 iui=0
_ds_load_u8_d16_hi v145, v[vgprLocalReadAddrA] offset:11136 // L -> Reg lro=10240 swapByteOffset=0 ti=128 vIdx=1 rIdx=3 oIdx=0 buffer=3 iui=0
v_mfma_f32_32x32x16_fp8_fp8 a[48+0:63+0], v[vgprValuA_X2_I0+2+0+0:vgprValuA_X2_I0+2+0+0+1], v[vgprValuB_X2_I0+4+0+0:vgprValuB_X2_I0+4+0+0+1], a[48:63]
/*  mfmaIndex:35  */
_ds_load_u8 v146, v[vgprLocalReadAddrA] offset:11648 // L -> Reg lro=10240 swapByteOffset=0 ti=128 vIdx=1 rIdx=5 oIdx=0 buffer=3 iui=0
_ds_load_u8_d16_hi v147, v[vgprLocalReadAddrA] offset:11904 // L -> Reg lro=10240 swapByteOffset=0 ti=128 vIdx=1 rIdx=6 oIdx=0 buffer=3 iui=0
_ds_load_u8_d16_hi v148, v[vgprLocalReadAddrA] offset:12160 // L -> Reg lro=10240 swapByteOffset=0 ti=128 vIdx=1 rIdx=7 oIdx=0 buffer=3 iui=0
v_mfma_f32_32x32x16_fp8_fp8 a[32+0:47+0], v[vgprValuA_X2_I0+0+0+0:vgprValuA_X2_I0+0+0+0+1], v[vgprValuB_X2_I0+4+0+0:vgprValuB_X2_I0+4+0+0+1], a[32:47]
/*  mfmaIndex:36  */
/* localReadsVacancy: latencyLeft 6 */
v_mfma_f32_32x32x16_fp8_fp8 a[64+0:79+0], v[vgprValuA_X2_I0+0+0+0:vgprValuA_X2_I0+0+0+0+1], v[vgprValuB_X2_I0+8+0+0:vgprValuB_X2_I0+8+0+0+1], a[64:79]
/*  mfmaIndex:37  */
/* localReadsVacancy: latencyLeft 6 */
	;; [unrolled: 3-line block ×11, first 2 shown]
/* 1 LDS buffer: read-sync-write */
s_waitcnt lgkmcnt(0)                               // 
s_barrier                                          // 
v_mfma_f32_32x32x16_fp8_fp8 a[240+0:255+0], v[vgprValuA_X2_I0+2+0+0:vgprValuA_X2_I0+2+0+0+1], v[vgprValuB_X2_I0+28+0+0:vgprValuB_X2_I0+28+0+0+1], a[240:255]
/*  mfmaIndex:47  */
/* localReadsVacancy: latencyLeft 6 */
v_mfma_f32_32x32x16_fp8_fp8 a[224+0:239+0], v[vgprValuA_X2_I0+0+0+0:vgprValuA_X2_I0+0+0+0+1], v[vgprValuB_X2_I0+28+0+0:vgprValuB_X2_I0+28+0+0+1], a[224:239]
/* numPrefetchIter=0 */
/* dataAtIterA=1 numReadsIterA=3 skipReadsIterA=1 readsPerIterA=16 */
/* dataAtIterB=0 numReadsIterB=1 skipReadsIterB=0 readsPerIterB=8 */


/* iter 3 (last unrolled loop) */

/*  grEndMfmaIndex:0, lwStartMfmaIndex:47, lwEndMfmaIndex:47  */
/*  numMfmaForLR:15, barrierMfmaIndex:48, LocalWritePerMfma:0.730 */
/*  mfmaIndex:48  */
/* pack scheduling: packAIdx:6, packBIdx:0 */
_v_lshl_or_b32 v[vgprValuA_X3_I0+0], v137, 0x8, v[vgprValuA_X3_I0+0] // pack two int8 Vgpr to one half Vgpr
_v_lshl_or_b32 v138, v139, 0x8, v138               // pack two int8 Vgpr to one half Vgpr
v_or_b32 v[vgprValuA_X3_I0+0], v[vgprValuA_X3_I0+0], v138 // pack two half Vgpr to one Vgpr
_v_lshl_or_b32 v[vgprValuA_X3_I0+1], v140, 0x8, v[vgprValuA_X3_I0+1] // pack two int8 Vgpr to one half Vgpr
_v_lshl_or_b32 v141, v142, 0x8, v141               // pack two int8 Vgpr to one half Vgpr
v_or_b32 v[vgprValuA_X3_I0+1], v[vgprValuA_X3_I0+1], v141 // pack two half Vgpr to one Vgpr
	;; [unrolled: 3-line block ×4, first 2 shown]
v_mfma_f32_32x32x16_fp8_fp8 a[0+0:15+0], v[vgprValuA_X3_I0+0+0+0:vgprValuA_X3_I0+0+0+0+1], v[vgprValuB_X2_I0+0+2+0:vgprValuB_X2_I0+0+2+0+1], a[0:15]
/*  mfmaIndex:49  */
v_mfma_f32_32x32x16_fp8_fp8 a[16+0:31+0], v[vgprValuA_X3_I0+2+0+0:vgprValuA_X3_I0+2+0+0+1], v[vgprValuB_X2_I0+0+2+0:vgprValuB_X2_I0+0+2+0+1], a[16:31]
/*  mfmaIndex:50  */
	;; [unrolled: 2-line block ×15, first 2 shown]
v_mfma_f32_32x32x16_fp8_fp8 a[224+0:239+0], v[vgprValuA_X3_I0+0+0+0:vgprValuA_X3_I0+0+0+0+1], v[vgprValuB_X2_I0+28+2+0:vgprValuB_X2_I0+28+2+0+1], a[224:239]

/* Stores for OptNLL */
Summation_End_OptNLL_18:
/* endSummation: add vgpr [0...122) to pool */
.set NumFullBlocks, UNDEF
.set WgmRemainder1, UNDEF
.set MagicNumberWgmRemainder1, UNDEF

/* Mapping of Acc register -> C Vgpr register */
/* computeStoreVgprs */
v_lshrrev_b32 v4, 6, v[vgprSerial]                 // v4 = v[vgprSerial] / 64
v_lshrrev_b32 v1, 2, v4                            // v1 = v4 / 4
v_mul_lo_u32 v1, 0x20, v1                          // wave coordination offset 1
v_and_b32 v5, 31, v[vgprSerial]                    // v5 = v[vgprSerial] % 32
_v_add_lshl_u32 v1, v5, v1, 0                      // coordination 1 = vwb *(wave_id1 + tid1)
v_mul_lo_u32 v2, v1, s[sgprStrideC1J]              //  offset 1
v_mul_lo_u32 v3, v1, s[sgprStrideD1J]              //  offset 1
v_and_b32 v0, 63, v[vgprSerial]                    // v0 = v[vgprSerial] % 64
v_lshrrev_b32 v0, 5, v0                            // v0 = v0 / 32
v_lshlrev_b32 v0, 0x2, v0                          // thread0 * continuous_output
v_and_b32 v5, 3, v4                                // v5 = v4 % 4
v_mul_lo_u32 v5, 0x20, v5                          // wave coordination offset 0
_v_add_lshl_u32 v0, v5, v0, 0                      // coordination 0 = vwa *(wave_id0 + tid0)
s_mul_i32 s53, 256, s[sgprWorkGroup0]              // wgp0 * MT0
_v_add_u32 v0, s53, v0                             // coord 0 = (tid0/MI_m)*4 + waveG0*MIB_m + MT0*SG0
s_mul_i32 s53, 256, s[sgprWorkGroup1]              // wgp1 * MT1
_v_add_u32 v1, s53, v1                             // coord 1 = (tid0%MI_m) + waveG1*MIB_n + MT1*SG1
/* Store Remap Local Write address */
v_lshrrev_b32 v5, 8, v[vgprSerial]                 // v5 = v[vgprSerial] / 256
v_and_b32 v4, 255, v[vgprSerial]                   // v4 = v[vgprSerial] % 256
v_mul_lo_u32 v13, 0x20, v5                         // coord1 offset of LDS for each Wave
v_and_b32 v5, 0x1f, v[vgprSerial]                  // coord1 offset of LDS for each thread
_v_add_u32 v5, v13, v5                             // coord1 offset in MacroTile
v_mov_b32 v11, 0x110                               // lds stride = MT0 + PAD
v_mul_lo_u32 v9, v5, v11                           // lds coord1 offset = Col-id* lds stride
v_lshrrev_b32 v10, 6, v4                           // v10 = v4 / 64
v_and_b32 v4, 63, v4                               // v4 = v4 % 64
v_lshrrev_b32 v12, 0x5, v4                         // tid / matrixInstN
v_lshlrev_b32 v12, 0x2, v12                        // lds coord0 offset *= 4 (each thread hold 4 element)
v_mad_u32_u24 v12, 32, v10, v12                    // coord0 += waveCoord0 * wave M shape(blockM*MiM)
_v_add_lshl_u32 v7, v9, v12, 0x0                   // local write C address

/* Store Remap Local Read address */
v_lshrrev_b32 v5, 6, v[vgprSerial]                 // v5 = v[vgprSerial] / 64
v_and_b32 v4, 63, v[vgprSerial]                    // v4 = v[vgprSerial] % 64
v_mul_lo_u32 v13, 0x8, v5                          // coord1 offset of LDS for each Wave
v_lshrrev_b32 v10, 0x4, v4                         // tid / nThreadPerCol
_v_add_u32 v6, v13, v10                            // coord1 offset in MacroTile
v_mul_lo_u32 v9, v6, v11                           // lds coord1 offset = Col-id* lds stride
v_and_b32 v12, 0xf, v4                             // coord0 offset of LDS for each thread
v_lshlrev_b32 v12, 0x4, v12                        // lds coord0 offset *= gwvw (each thread hold gwvw element)
_v_add_lshl_u32 v8, v9, v12, 0x0                   // local read C address

/* Store Remap global write coord0 and coord1 */
v_lshrrev_b32 v5, 8, v[vgprSerial]                 // v5 = v[vgprSerial] / 256
v_and_b32 v4, 255, v[vgprSerial]                   // v4 = v[vgprSerial] % 256
v_mul_lo_u32 v13, 0x20, v5                         // coord1 offset of global memory for each Wave
v_lshrrev_b32 v5, 6, v4                            // v5 = v4 / 64
v_and_b32 v4, 63, v4                               // v4 = v4 % 64
v_mad_u32_u24 v13, 8, v5, v13                      // waveCoord1 += waveCoord0 * MiN / WaveGroupM
v_lshrrev_b32 v10, 0x4, v4                         // tid / nThreadPerCol
_v_add_u32 v6, v13, v10                            // coord1 offset in MacroTile
s_mul_i32 s54, 0x100, s[sgprWorkGroup0]            // s54 = wg0*MT0
_v_add_co_u32 v4, vcc, s54, v12                    // coord0 = coord0 + wg0 * MT0
s_mul_i32 s55, MT1, s[sgprWorkGroup1]              // <- wg1*MT1
_v_add_co_u32 v5, vcc, s55, v6                     // coord1 = tid1*VW + wg1*MT1

// Skip force waitcnt0
s_barrier //StoreRemap Start
GW_B0_E0_21:

/* edge=0, allocate 2 sgpr. perBatchTmpS=2 perBatchMaskS=0 perElementMaskS=0 elementsPerBatch=8 */
/* optSingleColVgpr=1 optSharedColVgpr=0 optSGPRUsage=BufferLoad_Mask optSrdIncForRow=1 */

/******************************************/
/* Global Write Batch #0 (d1,d0,vc1,vc0) = */
/*    (0,0,0,0:vw4); (0,1,0,0:vw4); (0,2,0,0:vw4); (0,3,0,0:vw4); (0,4,0,0:vw4); (0,5,0,0:vw4); (0,6,0,0:vw4); (0,7,0,0:vw4) */
/******************************************/

/* calc coords, apply mask, and issue loads (if necessary) */
/* (d1,vc1,d0,vc0)=(0,0,0,0) */
/* (d1,vc1,d0,vc0)=(0,0,1,0) */
	;; [unrolled: 1-line block ×8, first 2 shown]
_v_add_lshl_u32 v9, v3, v0, 0x0                    // optSingleColVgpr scaleToBpe: sharedAddrVgpr <- cinRowPtr + coord0, scaled by BPE. BSHERE:coord0=0, coord0Vgpr=0
v_accvgpr_read_b32 v[vgprValuC+20], acc0 // copy acc to vreg[0]
v_accvgpr_read_b32 v[vgprValuC+21], acc1 // copy acc to vreg[1]
v_accvgpr_read_b32 v[vgprValuC+22], acc2 // copy acc to vreg[2]
v_accvgpr_read_b32 v[vgprValuC+23], acc3 // copy acc to vreg[3]
v_accvgpr_read_b32 v[vgprValuC+24], acc4 // copy acc to vreg[4]
v_accvgpr_read_b32 v[vgprValuC+25], acc5 // copy acc to vreg[5]
v_accvgpr_read_b32 v[vgprValuC+26], acc6 // copy acc to vreg[6]
v_accvgpr_read_b32 v[vgprValuC+27], acc7 // copy acc to vreg[7]
v_accvgpr_read_b32 v[vgprValuC+28], acc8 // copy acc to vreg[8]
v_accvgpr_read_b32 v[vgprValuC+29], acc9 // copy acc to vreg[9]
v_accvgpr_read_b32 v[vgprValuC+30], acc10 // copy acc to vreg[10]
v_accvgpr_read_b32 v[vgprValuC+31], acc11 // copy acc to vreg[11]
v_accvgpr_read_b32 v[vgprValuC+32], acc12 // copy acc to vreg[12]
v_accvgpr_read_b32 v[vgprValuC+33], acc13 // copy acc to vreg[13]
v_accvgpr_read_b32 v[vgprValuC+34], acc14 // copy acc to vreg[14]
v_accvgpr_read_b32 v[vgprValuC+35], acc15 // copy acc to vreg[15]
v_accvgpr_read_b32 v[vgprValuC+36], acc16 // copy acc to vreg[16]
v_accvgpr_read_b32 v[vgprValuC+37], acc17 // copy acc to vreg[17]
v_accvgpr_read_b32 v[vgprValuC+38], acc18 // copy acc to vreg[18]
v_accvgpr_read_b32 v[vgprValuC+39], acc19 // copy acc to vreg[19]
v_accvgpr_read_b32 v[vgprValuC+40], acc20 // copy acc to vreg[20]
v_accvgpr_read_b32 v[vgprValuC+41], acc21 // copy acc to vreg[21]
v_accvgpr_read_b32 v[vgprValuC+42], acc22 // copy acc to vreg[22]
v_accvgpr_read_b32 v[vgprValuC+43], acc23 // copy acc to vreg[23]
v_accvgpr_read_b32 v[vgprValuC+44], acc24 // copy acc to vreg[24]
v_accvgpr_read_b32 v[vgprValuC+45], acc25 // copy acc to vreg[25]
v_accvgpr_read_b32 v[vgprValuC+46], acc26 // copy acc to vreg[26]
v_accvgpr_read_b32 v[vgprValuC+47], acc27 // copy acc to vreg[27]
v_accvgpr_read_b32 v[vgprValuC+48], acc28 // copy acc to vreg[28]
v_accvgpr_read_b32 v[vgprValuC+49], acc29 // copy acc to vreg[29]
v_accvgpr_read_b32 v[vgprValuC+50], acc30 // copy acc to vreg[30]
v_accvgpr_read_b32 v[vgprValuC+51], acc31 // copy acc to vreg[31]
s_nop 1                                            // 2 wait states required before reading vgpr

/* apply mask, calc new C and issue writes */
v_mov_b32 v16, 0x207                               // flag for Nan and +/- inf
v_mov_b32 v14, 0x43700000                          // save 240.0f as max for clipping
v_mov_b32 v15, 0xC3700000                          // save -240.0f as min for clipping
v_cmp_class_f32 s[54:55], v[vgprValuC+20], v16     // check NaN and +/-INF
v_med3_f32 v12, v[vgprValuC+20], v14, v15          // Clipping f32 value if exceeds the limit
v_cndmask_b32 v12, v12, v[vgprValuC+20], s[54:55]  // 
v_cmp_class_f32 s[54:55], v[vgprValuC+21], v16     // check NaN and +/-INF
v_med3_f32 v13, v[vgprValuC+21], v14, v15          // Clipping f32 value if exceeds the limit
v_cndmask_b32 v13, v13, v[vgprValuC+21], s[54:55]  // 
v_cvt_pk_fp8_f32  v20, v12, v13 op_sel:[0,0,0]     // convert two f32 accumulated values to fp8 and save it to lo_16[0:15]
v_cmp_class_f32 s[54:55], v[vgprValuC+22], v16     // check NaN and +/-INF
v_med3_f32 v12, v[vgprValuC+22], v14, v15          // Clipping f32 value if exceeds the limit
v_cndmask_b32 v12, v12, v[vgprValuC+22], s[54:55]  // 
v_cmp_class_f32 s[54:55], v[vgprValuC+23], v16     // check NaN and +/-INF
v_med3_f32 v13, v[vgprValuC+23], v14, v15          // Clipping f32 value if exceeds the limit
v_cndmask_b32 v13, v13, v[vgprValuC+23], s[54:55]  // 
v_cvt_pk_fp8_f32  v20, v12, v13 op_sel:[0,0,1]     // convert two f32 accumulated values to fp8 and save it to hi_16[16:31]
_ds_store_b32 v7, v20, offset:0                    // storeRemap lw
v_cmp_class_f32 s[54:55], v[vgprValuC+24], v16     // check NaN and +/-INF
v_med3_f32 v12, v[vgprValuC+24], v14, v15          // Clipping f32 value if exceeds the limit
v_cndmask_b32 v12, v12, v[vgprValuC+24], s[54:55]  // 
v_cmp_class_f32 s[54:55], v[vgprValuC+25], v16     // check NaN and +/-INF
v_med3_f32 v13, v[vgprValuC+25], v14, v15          // Clipping f32 value if exceeds the limit
v_cndmask_b32 v13, v13, v[vgprValuC+25], s[54:55]  // 
v_cvt_pk_fp8_f32  v24, v12, v13 op_sel:[0,0,0]     // convert two f32 accumulated values to fp8 and save it to lo_16[0:15]
v_cmp_class_f32 s[54:55], v[vgprValuC+26], v16     // check NaN and +/-INF
v_med3_f32 v12, v[vgprValuC+26], v14, v15          // Clipping f32 value if exceeds the limit
v_cndmask_b32 v12, v12, v[vgprValuC+26], s[54:55]  // 
v_cmp_class_f32 s[54:55], v[vgprValuC+27], v16     // check NaN and +/-INF
v_med3_f32 v13, v[vgprValuC+27], v14, v15          // Clipping f32 value if exceeds the limit
v_cndmask_b32 v13, v13, v[vgprValuC+27], s[54:55]  // 
v_cvt_pk_fp8_f32  v24, v12, v13 op_sel:[0,0,1]     // convert two f32 accumulated values to fp8 and save it to hi_16[16:31]
_ds_store_b32 v7, v24, offset:8                    // storeRemap lw
v_cmp_class_f32 s[54:55], v[vgprValuC+28], v16     // check NaN and +/-INF
v_med3_f32 v12, v[vgprValuC+28], v14, v15          // Clipping f32 value if exceeds the limit
v_cndmask_b32 v12, v12, v[vgprValuC+28], s[54:55]  // 
v_cmp_class_f32 s[54:55], v[vgprValuC+29], v16     // check NaN and +/-INF
v_med3_f32 v13, v[vgprValuC+29], v14, v15          // Clipping f32 value if exceeds the limit
v_cndmask_b32 v13, v13, v[vgprValuC+29], s[54:55]  // 
v_cvt_pk_fp8_f32  v28, v12, v13 op_sel:[0,0,0]     // convert two f32 accumulated values to fp8 and save it to lo_16[0:15]
v_cmp_class_f32 s[54:55], v[vgprValuC+30], v16     // check NaN and +/-INF
v_med3_f32 v12, v[vgprValuC+30], v14, v15          // Clipping f32 value if exceeds the limit
v_cndmask_b32 v12, v12, v[vgprValuC+30], s[54:55]  // 
v_cmp_class_f32 s[54:55], v[vgprValuC+31], v16     // check NaN and +/-INF
v_med3_f32 v13, v[vgprValuC+31], v14, v15          // Clipping f32 value if exceeds the limit
v_cndmask_b32 v13, v13, v[vgprValuC+31], s[54:55]  // 
v_cvt_pk_fp8_f32  v28, v12, v13 op_sel:[0,0,1]     // convert two f32 accumulated values to fp8 and save it to hi_16[16:31]
_ds_store_b32 v7, v28, offset:16                   // storeRemap lw
v_cmp_class_f32 s[54:55], v[vgprValuC+32], v16     // check NaN and +/-INF
v_med3_f32 v12, v[vgprValuC+32], v14, v15          // Clipping f32 value if exceeds the limit
v_cndmask_b32 v12, v12, v[vgprValuC+32], s[54:55]  // 
v_cmp_class_f32 s[54:55], v[vgprValuC+33], v16     // check NaN and +/-INF
v_med3_f32 v13, v[vgprValuC+33], v14, v15          // Clipping f32 value if exceeds the limit
v_cndmask_b32 v13, v13, v[vgprValuC+33], s[54:55]  // 
v_cvt_pk_fp8_f32  v32, v12, v13 op_sel:[0,0,0]     // convert two f32 accumulated values to fp8 and save it to lo_16[0:15]
v_cmp_class_f32 s[54:55], v[vgprValuC+34], v16     // check NaN and +/-INF
v_med3_f32 v12, v[vgprValuC+34], v14, v15          // Clipping f32 value if exceeds the limit
v_cndmask_b32 v12, v12, v[vgprValuC+34], s[54:55]  // 
v_cmp_class_f32 s[54:55], v[vgprValuC+35], v16     // check NaN and +/-INF
v_med3_f32 v13, v[vgprValuC+35], v14, v15          // Clipping f32 value if exceeds the limit
v_cndmask_b32 v13, v13, v[vgprValuC+35], s[54:55]  // 
v_cvt_pk_fp8_f32  v32, v12, v13 op_sel:[0,0,1]     // convert two f32 accumulated values to fp8 and save it to hi_16[16:31]
_ds_store_b32 v7, v32, offset:24                   // storeRemap lw
v_cmp_class_f32 s[54:55], v[vgprValuC+36], v16     // check NaN and +/-INF
v_med3_f32 v12, v[vgprValuC+36], v14, v15          // Clipping f32 value if exceeds the limit
v_cndmask_b32 v12, v12, v[vgprValuC+36], s[54:55]  // 
v_cmp_class_f32 s[54:55], v[vgprValuC+37], v16     // check NaN and +/-INF
v_med3_f32 v13, v[vgprValuC+37], v14, v15          // Clipping f32 value if exceeds the limit
v_cndmask_b32 v13, v13, v[vgprValuC+37], s[54:55]  // 
v_cvt_pk_fp8_f32  v36, v12, v13 op_sel:[0,0,0]     // convert two f32 accumulated values to fp8 and save it to lo_16[0:15]
v_cmp_class_f32 s[54:55], v[vgprValuC+38], v16     // check NaN and +/-INF
v_med3_f32 v12, v[vgprValuC+38], v14, v15          // Clipping f32 value if exceeds the limit
v_cndmask_b32 v12, v12, v[vgprValuC+38], s[54:55]  // 
v_cmp_class_f32 s[54:55], v[vgprValuC+39], v16     // check NaN and +/-INF
v_med3_f32 v13, v[vgprValuC+39], v14, v15          // Clipping f32 value if exceeds the limit
v_cndmask_b32 v13, v13, v[vgprValuC+39], s[54:55]  // 
v_cvt_pk_fp8_f32  v36, v12, v13 op_sel:[0,0,1]     // convert two f32 accumulated values to fp8 and save it to hi_16[16:31]
_ds_store_b32 v7, v36, offset:128                  // storeRemap lw
v_cmp_class_f32 s[54:55], v[vgprValuC+40], v16     // check NaN and +/-INF
v_med3_f32 v12, v[vgprValuC+40], v14, v15          // Clipping f32 value if exceeds the limit
v_cndmask_b32 v12, v12, v[vgprValuC+40], s[54:55]  // 
v_cmp_class_f32 s[54:55], v[vgprValuC+41], v16     // check NaN and +/-INF
v_med3_f32 v13, v[vgprValuC+41], v14, v15          // Clipping f32 value if exceeds the limit
v_cndmask_b32 v13, v13, v[vgprValuC+41], s[54:55]  // 
v_cvt_pk_fp8_f32  v40, v12, v13 op_sel:[0,0,0]     // convert two f32 accumulated values to fp8 and save it to lo_16[0:15]
v_cmp_class_f32 s[54:55], v[vgprValuC+42], v16     // check NaN and +/-INF
v_med3_f32 v12, v[vgprValuC+42], v14, v15          // Clipping f32 value if exceeds the limit
v_cndmask_b32 v12, v12, v[vgprValuC+42], s[54:55]  // 
v_cmp_class_f32 s[54:55], v[vgprValuC+43], v16     // check NaN and +/-INF
v_med3_f32 v13, v[vgprValuC+43], v14, v15          // Clipping f32 value if exceeds the limit
v_cndmask_b32 v13, v13, v[vgprValuC+43], s[54:55]  // 
v_cvt_pk_fp8_f32  v40, v12, v13 op_sel:[0,0,1]     // convert two f32 accumulated values to fp8 and save it to hi_16[16:31]
_ds_store_b32 v7, v40, offset:136                  // storeRemap lw
v_cmp_class_f32 s[54:55], v[vgprValuC+44], v16     // check NaN and +/-INF
v_med3_f32 v12, v[vgprValuC+44], v14, v15          // Clipping f32 value if exceeds the limit
v_cndmask_b32 v12, v12, v[vgprValuC+44], s[54:55]  // 
v_cmp_class_f32 s[54:55], v[vgprValuC+45], v16     // check NaN and +/-INF
v_med3_f32 v13, v[vgprValuC+45], v14, v15          // Clipping f32 value if exceeds the limit
v_cndmask_b32 v13, v13, v[vgprValuC+45], s[54:55]  // 
v_cvt_pk_fp8_f32  v44, v12, v13 op_sel:[0,0,0]     // convert two f32 accumulated values to fp8 and save it to lo_16[0:15]
v_cmp_class_f32 s[54:55], v[vgprValuC+46], v16     // check NaN and +/-INF
v_med3_f32 v12, v[vgprValuC+46], v14, v15          // Clipping f32 value if exceeds the limit
v_cndmask_b32 v12, v12, v[vgprValuC+46], s[54:55]  // 
v_cmp_class_f32 s[54:55], v[vgprValuC+47], v16     // check NaN and +/-INF
v_med3_f32 v13, v[vgprValuC+47], v14, v15          // Clipping f32 value if exceeds the limit
v_cndmask_b32 v13, v13, v[vgprValuC+47], s[54:55]  // 
v_cvt_pk_fp8_f32  v44, v12, v13 op_sel:[0,0,1]     // convert two f32 accumulated values to fp8 and save it to hi_16[16:31]
_ds_store_b32 v7, v44, offset:144                  // storeRemap lw
v_cmp_class_f32 s[54:55], v[vgprValuC+48], v16     // check NaN and +/-INF
v_med3_f32 v12, v[vgprValuC+48], v14, v15          // Clipping f32 value if exceeds the limit
v_cndmask_b32 v12, v12, v[vgprValuC+48], s[54:55]  // 
v_cmp_class_f32 s[54:55], v[vgprValuC+49], v16     // check NaN and +/-INF
v_med3_f32 v13, v[vgprValuC+49], v14, v15          // Clipping f32 value if exceeds the limit
v_cndmask_b32 v13, v13, v[vgprValuC+49], s[54:55]  // 
v_cvt_pk_fp8_f32  v48, v12, v13 op_sel:[0,0,0]     // convert two f32 accumulated values to fp8 and save it to lo_16[0:15]
v_cmp_class_f32 s[54:55], v[vgprValuC+50], v16     // check NaN and +/-INF
v_med3_f32 v12, v[vgprValuC+50], v14, v15          // Clipping f32 value if exceeds the limit
v_cndmask_b32 v12, v12, v[vgprValuC+50], s[54:55]  // 
v_cmp_class_f32 s[54:55], v[vgprValuC+51], v16     // check NaN and +/-INF
v_med3_f32 v13, v[vgprValuC+51], v14, v15          // Clipping f32 value if exceeds the limit
v_cndmask_b32 v13, v13, v[vgprValuC+51], s[54:55]  // 
v_cvt_pk_fp8_f32  v48, v12, v13 op_sel:[0,0,1]     // convert two f32 accumulated values to fp8 and save it to hi_16[16:31]
_ds_store_b32 v7, v48, offset:152                  // storeRemap lw

/* Handle local read and global write */
s_waitcnt lgkmcnt(0)                               // wait for LDS write
s_barrier //wait all lds write finished

_ds_load_b128 v[20:23], v8, offset:0               // storeRemap lr
_ds_load_b128 v[24:27], v8, offset:1088            // storeRemap lr

v_mov_b32 v18, v6                                  // coord1
v_mul_lo_u32 v18, v18, s[sgprStrideD1J]            // coord1 offset =  coord1 * StrideD
_v_add_lshl_u32 v18, v18, v4, 0x0                  // global write D address
s_waitcnt lgkmcnt(1)                               // wait for LDS read
_buffer_store_b128 v[20:23], v18, s[sgprSrdD:sgprSrdD+3], 0, offen, offset:0 // store D
_v_add_u32 v18, v6, 4                              // coord1 += nColPerLoad
v_mul_lo_u32 v18, v18, s[sgprStrideD1J]            // coord1 offset =  coord1 * StrideD
_v_add_lshl_u32 v18, v18, v4, 0x0                  // global write D address
s_waitcnt lgkmcnt(0)                               // wait for LDS read
_buffer_store_b128 v[24:27], v18, s[sgprSrdD:sgprSrdD+3], 0, offen, offset:0 // store D

s_barrier //wait all lds read finished
s_nop 0                                            // 1 wait state required when next inst writes vgprs held by previous dwordx4 store inst
/* optSingleColVgpr=1 optSharedColVgpr=0 optSGPRUsage=BufferLoad_Mask optSrdIncForRow=1 */

/******************************************/
/* Global Write Batch #1 (d1,d0,vc1,vc0) = */
/*    (1,0,0,0:vw4); (1,1,0,0:vw4); (1,2,0,0:vw4); (1,3,0,0:vw4); (1,4,0,0:vw4); (1,5,0,0:vw4); (1,6,0,0:vw4); (1,7,0,0:vw4) */
/******************************************/

/* calc coords, apply mask, and issue loads (if necessary) */
/* (d1,vc1,d0,vc0)=(1,0,0,0) */
/* (d1,vc1,d0,vc0)=(1,0,1,0) */
	;; [unrolled: 1-line block ×8, first 2 shown]
v_accvgpr_read_b32 v[vgprValuC+20], acc32 // copy acc to vreg[32]
v_accvgpr_read_b32 v[vgprValuC+21], acc33 // copy acc to vreg[33]
v_accvgpr_read_b32 v[vgprValuC+22], acc34 // copy acc to vreg[34]
v_accvgpr_read_b32 v[vgprValuC+23], acc35 // copy acc to vreg[35]
v_accvgpr_read_b32 v[vgprValuC+24], acc36 // copy acc to vreg[36]
v_accvgpr_read_b32 v[vgprValuC+25], acc37 // copy acc to vreg[37]
v_accvgpr_read_b32 v[vgprValuC+26], acc38 // copy acc to vreg[38]
v_accvgpr_read_b32 v[vgprValuC+27], acc39 // copy acc to vreg[39]
v_accvgpr_read_b32 v[vgprValuC+28], acc40 // copy acc to vreg[40]
v_accvgpr_read_b32 v[vgprValuC+29], acc41 // copy acc to vreg[41]
v_accvgpr_read_b32 v[vgprValuC+30], acc42 // copy acc to vreg[42]
v_accvgpr_read_b32 v[vgprValuC+31], acc43 // copy acc to vreg[43]
v_accvgpr_read_b32 v[vgprValuC+32], acc44 // copy acc to vreg[44]
v_accvgpr_read_b32 v[vgprValuC+33], acc45 // copy acc to vreg[45]
v_accvgpr_read_b32 v[vgprValuC+34], acc46 // copy acc to vreg[46]
v_accvgpr_read_b32 v[vgprValuC+35], acc47 // copy acc to vreg[47]
v_accvgpr_read_b32 v[vgprValuC+36], acc48 // copy acc to vreg[48]
v_accvgpr_read_b32 v[vgprValuC+37], acc49 // copy acc to vreg[49]
v_accvgpr_read_b32 v[vgprValuC+38], acc50 // copy acc to vreg[50]
v_accvgpr_read_b32 v[vgprValuC+39], acc51 // copy acc to vreg[51]
v_accvgpr_read_b32 v[vgprValuC+40], acc52 // copy acc to vreg[52]
v_accvgpr_read_b32 v[vgprValuC+41], acc53 // copy acc to vreg[53]
v_accvgpr_read_b32 v[vgprValuC+42], acc54 // copy acc to vreg[54]
v_accvgpr_read_b32 v[vgprValuC+43], acc55 // copy acc to vreg[55]
v_accvgpr_read_b32 v[vgprValuC+44], acc56 // copy acc to vreg[56]
v_accvgpr_read_b32 v[vgprValuC+45], acc57 // copy acc to vreg[57]
v_accvgpr_read_b32 v[vgprValuC+46], acc58 // copy acc to vreg[58]
v_accvgpr_read_b32 v[vgprValuC+47], acc59 // copy acc to vreg[59]
v_accvgpr_read_b32 v[vgprValuC+48], acc60 // copy acc to vreg[60]
v_accvgpr_read_b32 v[vgprValuC+49], acc61 // copy acc to vreg[61]
v_accvgpr_read_b32 v[vgprValuC+50], acc62 // copy acc to vreg[62]
v_accvgpr_read_b32 v[vgprValuC+51], acc63 // copy acc to vreg[63]
s_nop 1                                            // 2 wait states required before reading vgpr

/* apply mask, calc new C and issue writes */
v_mov_b32 v16, 0x207                               // flag for Nan and +/- inf
v_mov_b32 v14, 0x43700000                          // save 240.0f as max for clipping
v_mov_b32 v15, 0xC3700000                          // save -240.0f as min for clipping

/* StoreRemap: shift coord1 address */
s_mul_i32 s54, s[sgprStrideD1J], 32                // scale StrideD *= numRows(32) * bpe
s_add_u32  s[sgprSrdD+0], s[sgprSrdD+0], s54       // incToNextRow: gra SRD += inc(lower)
s_addc_u32  s[sgprSrdD+1], s[sgprSrdD+1], 0        // incToNextRow: gra SRD += inc(upper)
v_mov_b32 v10, 32                                  // set shift rows
_v_add_u32 v5, v5, v10                             // shift storeRemap coord1
v_cmp_class_f32 s[54:55], v[vgprValuC+20], v16     // check NaN and +/-INF
v_med3_f32 v12, v[vgprValuC+20], v14, v15          // Clipping f32 value if exceeds the limit
v_cndmask_b32 v12, v12, v[vgprValuC+20], s[54:55]  // 
v_cmp_class_f32 s[54:55], v[vgprValuC+21], v16     // check NaN and +/-INF
v_med3_f32 v13, v[vgprValuC+21], v14, v15          // Clipping f32 value if exceeds the limit
v_cndmask_b32 v13, v13, v[vgprValuC+21], s[54:55]  // 
v_cvt_pk_fp8_f32  v20, v12, v13 op_sel:[0,0,0]     // convert two f32 accumulated values to fp8 and save it to lo_16[0:15]
v_cmp_class_f32 s[54:55], v[vgprValuC+22], v16     // check NaN and +/-INF
v_med3_f32 v12, v[vgprValuC+22], v14, v15          // Clipping f32 value if exceeds the limit
v_cndmask_b32 v12, v12, v[vgprValuC+22], s[54:55]  // 
v_cmp_class_f32 s[54:55], v[vgprValuC+23], v16     // check NaN and +/-INF
v_med3_f32 v13, v[vgprValuC+23], v14, v15          // Clipping f32 value if exceeds the limit
v_cndmask_b32 v13, v13, v[vgprValuC+23], s[54:55]  // 
v_cvt_pk_fp8_f32  v20, v12, v13 op_sel:[0,0,1]     // convert two f32 accumulated values to fp8 and save it to hi_16[16:31]
_ds_store_b32 v7, v20, offset:0                    // storeRemap lw
v_cmp_class_f32 s[54:55], v[vgprValuC+24], v16     // check NaN and +/-INF
v_med3_f32 v12, v[vgprValuC+24], v14, v15          // Clipping f32 value if exceeds the limit
v_cndmask_b32 v12, v12, v[vgprValuC+24], s[54:55]  // 
v_cmp_class_f32 s[54:55], v[vgprValuC+25], v16     // check NaN and +/-INF
v_med3_f32 v13, v[vgprValuC+25], v14, v15          // Clipping f32 value if exceeds the limit
v_cndmask_b32 v13, v13, v[vgprValuC+25], s[54:55]  // 
v_cvt_pk_fp8_f32  v24, v12, v13 op_sel:[0,0,0]     // convert two f32 accumulated values to fp8 and save it to lo_16[0:15]
v_cmp_class_f32 s[54:55], v[vgprValuC+26], v16     // check NaN and +/-INF
v_med3_f32 v12, v[vgprValuC+26], v14, v15          // Clipping f32 value if exceeds the limit
v_cndmask_b32 v12, v12, v[vgprValuC+26], s[54:55]  // 
v_cmp_class_f32 s[54:55], v[vgprValuC+27], v16     // check NaN and +/-INF
v_med3_f32 v13, v[vgprValuC+27], v14, v15          // Clipping f32 value if exceeds the limit
v_cndmask_b32 v13, v13, v[vgprValuC+27], s[54:55]  // 
v_cvt_pk_fp8_f32  v24, v12, v13 op_sel:[0,0,1]     // convert two f32 accumulated values to fp8 and save it to hi_16[16:31]
_ds_store_b32 v7, v24, offset:8                    // storeRemap lw
v_cmp_class_f32 s[54:55], v[vgprValuC+28], v16     // check NaN and +/-INF
v_med3_f32 v12, v[vgprValuC+28], v14, v15          // Clipping f32 value if exceeds the limit
v_cndmask_b32 v12, v12, v[vgprValuC+28], s[54:55]  // 
v_cmp_class_f32 s[54:55], v[vgprValuC+29], v16     // check NaN and +/-INF
v_med3_f32 v13, v[vgprValuC+29], v14, v15          // Clipping f32 value if exceeds the limit
v_cndmask_b32 v13, v13, v[vgprValuC+29], s[54:55]  // 
v_cvt_pk_fp8_f32  v28, v12, v13 op_sel:[0,0,0]     // convert two f32 accumulated values to fp8 and save it to lo_16[0:15]
v_cmp_class_f32 s[54:55], v[vgprValuC+30], v16     // check NaN and +/-INF
v_med3_f32 v12, v[vgprValuC+30], v14, v15          // Clipping f32 value if exceeds the limit
v_cndmask_b32 v12, v12, v[vgprValuC+30], s[54:55]  // 
v_cmp_class_f32 s[54:55], v[vgprValuC+31], v16     // check NaN and +/-INF
v_med3_f32 v13, v[vgprValuC+31], v14, v15          // Clipping f32 value if exceeds the limit
v_cndmask_b32 v13, v13, v[vgprValuC+31], s[54:55]  // 
v_cvt_pk_fp8_f32  v28, v12, v13 op_sel:[0,0,1]     // convert two f32 accumulated values to fp8 and save it to hi_16[16:31]
_ds_store_b32 v7, v28, offset:16                   // storeRemap lw
v_cmp_class_f32 s[54:55], v[vgprValuC+32], v16     // check NaN and +/-INF
v_med3_f32 v12, v[vgprValuC+32], v14, v15          // Clipping f32 value if exceeds the limit
v_cndmask_b32 v12, v12, v[vgprValuC+32], s[54:55]  // 
v_cmp_class_f32 s[54:55], v[vgprValuC+33], v16     // check NaN and +/-INF
v_med3_f32 v13, v[vgprValuC+33], v14, v15          // Clipping f32 value if exceeds the limit
v_cndmask_b32 v13, v13, v[vgprValuC+33], s[54:55]  // 
v_cvt_pk_fp8_f32  v32, v12, v13 op_sel:[0,0,0]     // convert two f32 accumulated values to fp8 and save it to lo_16[0:15]
v_cmp_class_f32 s[54:55], v[vgprValuC+34], v16     // check NaN and +/-INF
v_med3_f32 v12, v[vgprValuC+34], v14, v15          // Clipping f32 value if exceeds the limit
v_cndmask_b32 v12, v12, v[vgprValuC+34], s[54:55]  // 
v_cmp_class_f32 s[54:55], v[vgprValuC+35], v16     // check NaN and +/-INF
v_med3_f32 v13, v[vgprValuC+35], v14, v15          // Clipping f32 value if exceeds the limit
v_cndmask_b32 v13, v13, v[vgprValuC+35], s[54:55]  // 
v_cvt_pk_fp8_f32  v32, v12, v13 op_sel:[0,0,1]     // convert two f32 accumulated values to fp8 and save it to hi_16[16:31]
_ds_store_b32 v7, v32, offset:24                   // storeRemap lw
v_cmp_class_f32 s[54:55], v[vgprValuC+36], v16     // check NaN and +/-INF
v_med3_f32 v12, v[vgprValuC+36], v14, v15          // Clipping f32 value if exceeds the limit
v_cndmask_b32 v12, v12, v[vgprValuC+36], s[54:55]  // 
v_cmp_class_f32 s[54:55], v[vgprValuC+37], v16     // check NaN and +/-INF
v_med3_f32 v13, v[vgprValuC+37], v14, v15          // Clipping f32 value if exceeds the limit
v_cndmask_b32 v13, v13, v[vgprValuC+37], s[54:55]  // 
v_cvt_pk_fp8_f32  v36, v12, v13 op_sel:[0,0,0]     // convert two f32 accumulated values to fp8 and save it to lo_16[0:15]
v_cmp_class_f32 s[54:55], v[vgprValuC+38], v16     // check NaN and +/-INF
v_med3_f32 v12, v[vgprValuC+38], v14, v15          // Clipping f32 value if exceeds the limit
v_cndmask_b32 v12, v12, v[vgprValuC+38], s[54:55]  // 
v_cmp_class_f32 s[54:55], v[vgprValuC+39], v16     // check NaN and +/-INF
v_med3_f32 v13, v[vgprValuC+39], v14, v15          // Clipping f32 value if exceeds the limit
v_cndmask_b32 v13, v13, v[vgprValuC+39], s[54:55]  // 
v_cvt_pk_fp8_f32  v36, v12, v13 op_sel:[0,0,1]     // convert two f32 accumulated values to fp8 and save it to hi_16[16:31]
_ds_store_b32 v7, v36, offset:128                  // storeRemap lw
v_cmp_class_f32 s[54:55], v[vgprValuC+40], v16     // check NaN and +/-INF
v_med3_f32 v12, v[vgprValuC+40], v14, v15          // Clipping f32 value if exceeds the limit
v_cndmask_b32 v12, v12, v[vgprValuC+40], s[54:55]  // 
v_cmp_class_f32 s[54:55], v[vgprValuC+41], v16     // check NaN and +/-INF
v_med3_f32 v13, v[vgprValuC+41], v14, v15          // Clipping f32 value if exceeds the limit
v_cndmask_b32 v13, v13, v[vgprValuC+41], s[54:55]  // 
v_cvt_pk_fp8_f32  v40, v12, v13 op_sel:[0,0,0]     // convert two f32 accumulated values to fp8 and save it to lo_16[0:15]
v_cmp_class_f32 s[54:55], v[vgprValuC+42], v16     // check NaN and +/-INF
v_med3_f32 v12, v[vgprValuC+42], v14, v15          // Clipping f32 value if exceeds the limit
v_cndmask_b32 v12, v12, v[vgprValuC+42], s[54:55]  // 
v_cmp_class_f32 s[54:55], v[vgprValuC+43], v16     // check NaN and +/-INF
v_med3_f32 v13, v[vgprValuC+43], v14, v15          // Clipping f32 value if exceeds the limit
v_cndmask_b32 v13, v13, v[vgprValuC+43], s[54:55]  // 
v_cvt_pk_fp8_f32  v40, v12, v13 op_sel:[0,0,1]     // convert two f32 accumulated values to fp8 and save it to hi_16[16:31]
_ds_store_b32 v7, v40, offset:136                  // storeRemap lw
	;; [unrolled: 15-line block ×4, first 2 shown]

/* Handle local read and global write */
s_waitcnt lgkmcnt(0)                               // wait for LDS write
s_barrier //wait all lds write finished

_ds_load_b128 v[20:23], v8, offset:0               // storeRemap lr
_ds_load_b128 v[24:27], v8, offset:1088            // storeRemap lr

v_mov_b32 v18, v6                                  // coord1
v_mul_lo_u32 v18, v18, s[sgprStrideD1J]            // coord1 offset =  coord1 * StrideD
_v_add_lshl_u32 v18, v18, v4, 0x0                  // global write D address
s_waitcnt lgkmcnt(1)                               // wait for LDS read
_buffer_store_b128 v[20:23], v18, s[sgprSrdD:sgprSrdD+3], 0, offen, offset:0 // store D
_v_add_u32 v18, v6, 4                              // coord1 += nColPerLoad
v_mul_lo_u32 v18, v18, s[sgprStrideD1J]            // coord1 offset =  coord1 * StrideD
_v_add_lshl_u32 v18, v18, v4, 0x0                  // global write D address
s_waitcnt lgkmcnt(0)                               // wait for LDS read
_buffer_store_b128 v[24:27], v18, s[sgprSrdD:sgprSrdD+3], 0, offen, offset:0 // store D

s_barrier //wait all lds read finished
s_nop 0                                            // 1 wait state required when next inst writes vgprs held by previous dwordx4 store inst
/* optSingleColVgpr=1 optSharedColVgpr=0 optSGPRUsage=BufferLoad_Mask optSrdIncForRow=1 */

/******************************************/
/* Global Write Batch #2 (d1,d0,vc1,vc0) = */
/*    (2,0,0,0:vw4); (2,1,0,0:vw4); (2,2,0,0:vw4); (2,3,0,0:vw4); (2,4,0,0:vw4); (2,5,0,0:vw4); (2,6,0,0:vw4); (2,7,0,0:vw4) */
/******************************************/

/* calc coords, apply mask, and issue loads (if necessary) */
/* (d1,vc1,d0,vc0)=(2,0,0,0) */
/* (d1,vc1,d0,vc0)=(2,0,1,0) */
/* (d1,vc1,d0,vc0)=(2,0,2,0) */
/* (d1,vc1,d0,vc0)=(2,0,3,0) */
/* (d1,vc1,d0,vc0)=(2,0,4,0) */
/* (d1,vc1,d0,vc0)=(2,0,5,0) */
/* (d1,vc1,d0,vc0)=(2,0,6,0) */
/* (d1,vc1,d0,vc0)=(2,0,7,0) */
v_accvgpr_read_b32 v[vgprValuC+20], acc64 // copy acc to vreg[64]
v_accvgpr_read_b32 v[vgprValuC+21], acc65 // copy acc to vreg[65]
v_accvgpr_read_b32 v[vgprValuC+22], acc66 // copy acc to vreg[66]
v_accvgpr_read_b32 v[vgprValuC+23], acc67 // copy acc to vreg[67]
v_accvgpr_read_b32 v[vgprValuC+24], acc68 // copy acc to vreg[68]
v_accvgpr_read_b32 v[vgprValuC+25], acc69 // copy acc to vreg[69]
v_accvgpr_read_b32 v[vgprValuC+26], acc70 // copy acc to vreg[70]
v_accvgpr_read_b32 v[vgprValuC+27], acc71 // copy acc to vreg[71]
v_accvgpr_read_b32 v[vgprValuC+28], acc72 // copy acc to vreg[72]
v_accvgpr_read_b32 v[vgprValuC+29], acc73 // copy acc to vreg[73]
v_accvgpr_read_b32 v[vgprValuC+30], acc74 // copy acc to vreg[74]
v_accvgpr_read_b32 v[vgprValuC+31], acc75 // copy acc to vreg[75]
v_accvgpr_read_b32 v[vgprValuC+32], acc76 // copy acc to vreg[76]
v_accvgpr_read_b32 v[vgprValuC+33], acc77 // copy acc to vreg[77]
v_accvgpr_read_b32 v[vgprValuC+34], acc78 // copy acc to vreg[78]
v_accvgpr_read_b32 v[vgprValuC+35], acc79 // copy acc to vreg[79]
v_accvgpr_read_b32 v[vgprValuC+36], acc80 // copy acc to vreg[80]
v_accvgpr_read_b32 v[vgprValuC+37], acc81 // copy acc to vreg[81]
v_accvgpr_read_b32 v[vgprValuC+38], acc82 // copy acc to vreg[82]
v_accvgpr_read_b32 v[vgprValuC+39], acc83 // copy acc to vreg[83]
v_accvgpr_read_b32 v[vgprValuC+40], acc84 // copy acc to vreg[84]
v_accvgpr_read_b32 v[vgprValuC+41], acc85 // copy acc to vreg[85]
v_accvgpr_read_b32 v[vgprValuC+42], acc86 // copy acc to vreg[86]
v_accvgpr_read_b32 v[vgprValuC+43], acc87 // copy acc to vreg[87]
v_accvgpr_read_b32 v[vgprValuC+44], acc88 // copy acc to vreg[88]
v_accvgpr_read_b32 v[vgprValuC+45], acc89 // copy acc to vreg[89]
v_accvgpr_read_b32 v[vgprValuC+46], acc90 // copy acc to vreg[90]
v_accvgpr_read_b32 v[vgprValuC+47], acc91 // copy acc to vreg[91]
v_accvgpr_read_b32 v[vgprValuC+48], acc92 // copy acc to vreg[92]
v_accvgpr_read_b32 v[vgprValuC+49], acc93 // copy acc to vreg[93]
v_accvgpr_read_b32 v[vgprValuC+50], acc94 // copy acc to vreg[94]
v_accvgpr_read_b32 v[vgprValuC+51], acc95 // copy acc to vreg[95]
s_nop 1                                            // 2 wait states required before reading vgpr

/* apply mask, calc new C and issue writes */
v_mov_b32 v16, 0x207                               // flag for Nan and +/- inf
v_mov_b32 v14, 0x43700000                          // save 240.0f as max for clipping
v_mov_b32 v15, 0xC3700000                          // save -240.0f as min for clipping

/* StoreRemap: shift coord1 address */
s_mul_i32 s54, s[sgprStrideD1J], 32                // scale StrideD *= numRows(32) * bpe
s_add_u32  s[sgprSrdD+0], s[sgprSrdD+0], s54       // incToNextRow: gra SRD += inc(lower)
s_addc_u32  s[sgprSrdD+1], s[sgprSrdD+1], 0        // incToNextRow: gra SRD += inc(upper)
v_mov_b32 v10, 32                                  // set shift rows
_v_add_u32 v5, v5, v10                             // shift storeRemap coord1
v_cmp_class_f32 s[54:55], v[vgprValuC+20], v16     // check NaN and +/-INF
v_med3_f32 v12, v[vgprValuC+20], v14, v15          // Clipping f32 value if exceeds the limit
v_cndmask_b32 v12, v12, v[vgprValuC+20], s[54:55]  // 
v_cmp_class_f32 s[54:55], v[vgprValuC+21], v16     // check NaN and +/-INF
v_med3_f32 v13, v[vgprValuC+21], v14, v15          // Clipping f32 value if exceeds the limit
v_cndmask_b32 v13, v13, v[vgprValuC+21], s[54:55]  // 
v_cvt_pk_fp8_f32  v20, v12, v13 op_sel:[0,0,0]     // convert two f32 accumulated values to fp8 and save it to lo_16[0:15]
v_cmp_class_f32 s[54:55], v[vgprValuC+22], v16     // check NaN and +/-INF
v_med3_f32 v12, v[vgprValuC+22], v14, v15          // Clipping f32 value if exceeds the limit
v_cndmask_b32 v12, v12, v[vgprValuC+22], s[54:55]  // 
v_cmp_class_f32 s[54:55], v[vgprValuC+23], v16     // check NaN and +/-INF
v_med3_f32 v13, v[vgprValuC+23], v14, v15          // Clipping f32 value if exceeds the limit
v_cndmask_b32 v13, v13, v[vgprValuC+23], s[54:55]  // 
v_cvt_pk_fp8_f32  v20, v12, v13 op_sel:[0,0,1]     // convert two f32 accumulated values to fp8 and save it to hi_16[16:31]
_ds_store_b32 v7, v20, offset:0                    // storeRemap lw
v_cmp_class_f32 s[54:55], v[vgprValuC+24], v16     // check NaN and +/-INF
v_med3_f32 v12, v[vgprValuC+24], v14, v15          // Clipping f32 value if exceeds the limit
v_cndmask_b32 v12, v12, v[vgprValuC+24], s[54:55]  // 
v_cmp_class_f32 s[54:55], v[vgprValuC+25], v16     // check NaN and +/-INF
v_med3_f32 v13, v[vgprValuC+25], v14, v15          // Clipping f32 value if exceeds the limit
v_cndmask_b32 v13, v13, v[vgprValuC+25], s[54:55]  // 
v_cvt_pk_fp8_f32  v24, v12, v13 op_sel:[0,0,0]     // convert two f32 accumulated values to fp8 and save it to lo_16[0:15]
v_cmp_class_f32 s[54:55], v[vgprValuC+26], v16     // check NaN and +/-INF
v_med3_f32 v12, v[vgprValuC+26], v14, v15          // Clipping f32 value if exceeds the limit
v_cndmask_b32 v12, v12, v[vgprValuC+26], s[54:55]  // 
v_cmp_class_f32 s[54:55], v[vgprValuC+27], v16     // check NaN and +/-INF
v_med3_f32 v13, v[vgprValuC+27], v14, v15          // Clipping f32 value if exceeds the limit
v_cndmask_b32 v13, v13, v[vgprValuC+27], s[54:55]  // 
v_cvt_pk_fp8_f32  v24, v12, v13 op_sel:[0,0,1]     // convert two f32 accumulated values to fp8 and save it to hi_16[16:31]
_ds_store_b32 v7, v24, offset:8                    // storeRemap lw
v_cmp_class_f32 s[54:55], v[vgprValuC+28], v16     // check NaN and +/-INF
v_med3_f32 v12, v[vgprValuC+28], v14, v15          // Clipping f32 value if exceeds the limit
v_cndmask_b32 v12, v12, v[vgprValuC+28], s[54:55]  // 
v_cmp_class_f32 s[54:55], v[vgprValuC+29], v16     // check NaN and +/-INF
v_med3_f32 v13, v[vgprValuC+29], v14, v15          // Clipping f32 value if exceeds the limit
v_cndmask_b32 v13, v13, v[vgprValuC+29], s[54:55]  // 
v_cvt_pk_fp8_f32  v28, v12, v13 op_sel:[0,0,0]     // convert two f32 accumulated values to fp8 and save it to lo_16[0:15]
v_cmp_class_f32 s[54:55], v[vgprValuC+30], v16     // check NaN and +/-INF
v_med3_f32 v12, v[vgprValuC+30], v14, v15          // Clipping f32 value if exceeds the limit
v_cndmask_b32 v12, v12, v[vgprValuC+30], s[54:55]  // 
v_cmp_class_f32 s[54:55], v[vgprValuC+31], v16     // check NaN and +/-INF
v_med3_f32 v13, v[vgprValuC+31], v14, v15          // Clipping f32 value if exceeds the limit
v_cndmask_b32 v13, v13, v[vgprValuC+31], s[54:55]  // 
v_cvt_pk_fp8_f32  v28, v12, v13 op_sel:[0,0,1]     // convert two f32 accumulated values to fp8 and save it to hi_16[16:31]
_ds_store_b32 v7, v28, offset:16                   // storeRemap lw
v_cmp_class_f32 s[54:55], v[vgprValuC+32], v16     // check NaN and +/-INF
v_med3_f32 v12, v[vgprValuC+32], v14, v15          // Clipping f32 value if exceeds the limit
v_cndmask_b32 v12, v12, v[vgprValuC+32], s[54:55]  // 
v_cmp_class_f32 s[54:55], v[vgprValuC+33], v16     // check NaN and +/-INF
v_med3_f32 v13, v[vgprValuC+33], v14, v15          // Clipping f32 value if exceeds the limit
v_cndmask_b32 v13, v13, v[vgprValuC+33], s[54:55]  // 
v_cvt_pk_fp8_f32  v32, v12, v13 op_sel:[0,0,0]     // convert two f32 accumulated values to fp8 and save it to lo_16[0:15]
v_cmp_class_f32 s[54:55], v[vgprValuC+34], v16     // check NaN and +/-INF
v_med3_f32 v12, v[vgprValuC+34], v14, v15          // Clipping f32 value if exceeds the limit
v_cndmask_b32 v12, v12, v[vgprValuC+34], s[54:55]  // 
v_cmp_class_f32 s[54:55], v[vgprValuC+35], v16     // check NaN and +/-INF
v_med3_f32 v13, v[vgprValuC+35], v14, v15          // Clipping f32 value if exceeds the limit
v_cndmask_b32 v13, v13, v[vgprValuC+35], s[54:55]  // 
v_cvt_pk_fp8_f32  v32, v12, v13 op_sel:[0,0,1]     // convert two f32 accumulated values to fp8 and save it to hi_16[16:31]
_ds_store_b32 v7, v32, offset:24                   // storeRemap lw
v_cmp_class_f32 s[54:55], v[vgprValuC+36], v16     // check NaN and +/-INF
v_med3_f32 v12, v[vgprValuC+36], v14, v15          // Clipping f32 value if exceeds the limit
v_cndmask_b32 v12, v12, v[vgprValuC+36], s[54:55]  // 
v_cmp_class_f32 s[54:55], v[vgprValuC+37], v16     // check NaN and +/-INF
v_med3_f32 v13, v[vgprValuC+37], v14, v15          // Clipping f32 value if exceeds the limit
v_cndmask_b32 v13, v13, v[vgprValuC+37], s[54:55]  // 
v_cvt_pk_fp8_f32  v36, v12, v13 op_sel:[0,0,0]     // convert two f32 accumulated values to fp8 and save it to lo_16[0:15]
v_cmp_class_f32 s[54:55], v[vgprValuC+38], v16     // check NaN and +/-INF
v_med3_f32 v12, v[vgprValuC+38], v14, v15          // Clipping f32 value if exceeds the limit
v_cndmask_b32 v12, v12, v[vgprValuC+38], s[54:55]  // 
v_cmp_class_f32 s[54:55], v[vgprValuC+39], v16     // check NaN and +/-INF
v_med3_f32 v13, v[vgprValuC+39], v14, v15          // Clipping f32 value if exceeds the limit
v_cndmask_b32 v13, v13, v[vgprValuC+39], s[54:55]  // 
v_cvt_pk_fp8_f32  v36, v12, v13 op_sel:[0,0,1]     // convert two f32 accumulated values to fp8 and save it to hi_16[16:31]
_ds_store_b32 v7, v36, offset:128                  // storeRemap lw
v_cmp_class_f32 s[54:55], v[vgprValuC+40], v16     // check NaN and +/-INF
v_med3_f32 v12, v[vgprValuC+40], v14, v15          // Clipping f32 value if exceeds the limit
v_cndmask_b32 v12, v12, v[vgprValuC+40], s[54:55]  // 
v_cmp_class_f32 s[54:55], v[vgprValuC+41], v16     // check NaN and +/-INF
v_med3_f32 v13, v[vgprValuC+41], v14, v15          // Clipping f32 value if exceeds the limit
v_cndmask_b32 v13, v13, v[vgprValuC+41], s[54:55]  // 
v_cvt_pk_fp8_f32  v40, v12, v13 op_sel:[0,0,0]     // convert two f32 accumulated values to fp8 and save it to lo_16[0:15]
v_cmp_class_f32 s[54:55], v[vgprValuC+42], v16     // check NaN and +/-INF
v_med3_f32 v12, v[vgprValuC+42], v14, v15          // Clipping f32 value if exceeds the limit
v_cndmask_b32 v12, v12, v[vgprValuC+42], s[54:55]  // 
v_cmp_class_f32 s[54:55], v[vgprValuC+43], v16     // check NaN and +/-INF
v_med3_f32 v13, v[vgprValuC+43], v14, v15          // Clipping f32 value if exceeds the limit
v_cndmask_b32 v13, v13, v[vgprValuC+43], s[54:55]  // 
v_cvt_pk_fp8_f32  v40, v12, v13 op_sel:[0,0,1]     // convert two f32 accumulated values to fp8 and save it to hi_16[16:31]
_ds_store_b32 v7, v40, offset:136                  // storeRemap lw
	;; [unrolled: 15-line block ×4, first 2 shown]

/* Handle local read and global write */
s_waitcnt lgkmcnt(0)                               // wait for LDS write
s_barrier //wait all lds write finished

_ds_load_b128 v[20:23], v8, offset:0               // storeRemap lr
_ds_load_b128 v[24:27], v8, offset:1088            // storeRemap lr

v_mov_b32 v18, v6                                  // coord1
v_mul_lo_u32 v18, v18, s[sgprStrideD1J]            // coord1 offset =  coord1 * StrideD
_v_add_lshl_u32 v18, v18, v4, 0x0                  // global write D address
s_waitcnt lgkmcnt(1)                               // wait for LDS read
_buffer_store_b128 v[20:23], v18, s[sgprSrdD:sgprSrdD+3], 0, offen, offset:0 // store D
_v_add_u32 v18, v6, 4                              // coord1 += nColPerLoad
v_mul_lo_u32 v18, v18, s[sgprStrideD1J]            // coord1 offset =  coord1 * StrideD
_v_add_lshl_u32 v18, v18, v4, 0x0                  // global write D address
s_waitcnt lgkmcnt(0)                               // wait for LDS read
_buffer_store_b128 v[24:27], v18, s[sgprSrdD:sgprSrdD+3], 0, offen, offset:0 // store D

s_barrier //wait all lds read finished
s_nop 0                                            // 1 wait state required when next inst writes vgprs held by previous dwordx4 store inst
/* optSingleColVgpr=1 optSharedColVgpr=0 optSGPRUsage=BufferLoad_Mask optSrdIncForRow=1 */

/******************************************/
/* Global Write Batch #3 (d1,d0,vc1,vc0) = */
/*    (3,0,0,0:vw4); (3,1,0,0:vw4); (3,2,0,0:vw4); (3,3,0,0:vw4); (3,4,0,0:vw4); (3,5,0,0:vw4); (3,6,0,0:vw4); (3,7,0,0:vw4) */
/******************************************/

/* calc coords, apply mask, and issue loads (if necessary) */
/* (d1,vc1,d0,vc0)=(3,0,0,0) */
/* (d1,vc1,d0,vc0)=(3,0,1,0) */
/* (d1,vc1,d0,vc0)=(3,0,2,0) */
/* (d1,vc1,d0,vc0)=(3,0,3,0) */
/* (d1,vc1,d0,vc0)=(3,0,4,0) */
/* (d1,vc1,d0,vc0)=(3,0,5,0) */
/* (d1,vc1,d0,vc0)=(3,0,6,0) */
/* (d1,vc1,d0,vc0)=(3,0,7,0) */
v_accvgpr_read_b32 v[vgprValuC+20], acc96 // copy acc to vreg[96]
v_accvgpr_read_b32 v[vgprValuC+21], acc97 // copy acc to vreg[97]
v_accvgpr_read_b32 v[vgprValuC+22], acc98 // copy acc to vreg[98]
v_accvgpr_read_b32 v[vgprValuC+23], acc99 // copy acc to vreg[99]
v_accvgpr_read_b32 v[vgprValuC+24], acc100 // copy acc to vreg[100]
v_accvgpr_read_b32 v[vgprValuC+25], acc101 // copy acc to vreg[101]
v_accvgpr_read_b32 v[vgprValuC+26], acc102 // copy acc to vreg[102]
v_accvgpr_read_b32 v[vgprValuC+27], acc103 // copy acc to vreg[103]
v_accvgpr_read_b32 v[vgprValuC+28], acc104 // copy acc to vreg[104]
v_accvgpr_read_b32 v[vgprValuC+29], acc105 // copy acc to vreg[105]
v_accvgpr_read_b32 v[vgprValuC+30], acc106 // copy acc to vreg[106]
v_accvgpr_read_b32 v[vgprValuC+31], acc107 // copy acc to vreg[107]
v_accvgpr_read_b32 v[vgprValuC+32], acc108 // copy acc to vreg[108]
v_accvgpr_read_b32 v[vgprValuC+33], acc109 // copy acc to vreg[109]
v_accvgpr_read_b32 v[vgprValuC+34], acc110 // copy acc to vreg[110]
v_accvgpr_read_b32 v[vgprValuC+35], acc111 // copy acc to vreg[111]
v_accvgpr_read_b32 v[vgprValuC+36], acc112 // copy acc to vreg[112]
v_accvgpr_read_b32 v[vgprValuC+37], acc113 // copy acc to vreg[113]
v_accvgpr_read_b32 v[vgprValuC+38], acc114 // copy acc to vreg[114]
v_accvgpr_read_b32 v[vgprValuC+39], acc115 // copy acc to vreg[115]
v_accvgpr_read_b32 v[vgprValuC+40], acc116 // copy acc to vreg[116]
v_accvgpr_read_b32 v[vgprValuC+41], acc117 // copy acc to vreg[117]
v_accvgpr_read_b32 v[vgprValuC+42], acc118 // copy acc to vreg[118]
v_accvgpr_read_b32 v[vgprValuC+43], acc119 // copy acc to vreg[119]
v_accvgpr_read_b32 v[vgprValuC+44], acc120 // copy acc to vreg[120]
v_accvgpr_read_b32 v[vgprValuC+45], acc121 // copy acc to vreg[121]
v_accvgpr_read_b32 v[vgprValuC+46], acc122 // copy acc to vreg[122]
v_accvgpr_read_b32 v[vgprValuC+47], acc123 // copy acc to vreg[123]
v_accvgpr_read_b32 v[vgprValuC+48], acc124 // copy acc to vreg[124]
v_accvgpr_read_b32 v[vgprValuC+49], acc125 // copy acc to vreg[125]
v_accvgpr_read_b32 v[vgprValuC+50], acc126 // copy acc to vreg[126]
v_accvgpr_read_b32 v[vgprValuC+51], acc127 // copy acc to vreg[127]
s_nop 1                                            // 2 wait states required before reading vgpr

/* apply mask, calc new C and issue writes */
v_mov_b32 v16, 0x207                               // flag for Nan and +/- inf
v_mov_b32 v14, 0x43700000                          // save 240.0f as max for clipping
v_mov_b32 v15, 0xC3700000                          // save -240.0f as min for clipping

/* StoreRemap: shift coord1 address */
s_mul_i32 s54, s[sgprStrideD1J], 32                // scale StrideD *= numRows(32) * bpe
s_add_u32  s[sgprSrdD+0], s[sgprSrdD+0], s54       // incToNextRow: gra SRD += inc(lower)
s_addc_u32  s[sgprSrdD+1], s[sgprSrdD+1], 0        // incToNextRow: gra SRD += inc(upper)
v_mov_b32 v10, 32                                  // set shift rows
_v_add_u32 v5, v5, v10                             // shift storeRemap coord1
v_cmp_class_f32 s[54:55], v[vgprValuC+20], v16     // check NaN and +/-INF
v_med3_f32 v12, v[vgprValuC+20], v14, v15          // Clipping f32 value if exceeds the limit
v_cndmask_b32 v12, v12, v[vgprValuC+20], s[54:55]  // 
v_cmp_class_f32 s[54:55], v[vgprValuC+21], v16     // check NaN and +/-INF
v_med3_f32 v13, v[vgprValuC+21], v14, v15          // Clipping f32 value if exceeds the limit
v_cndmask_b32 v13, v13, v[vgprValuC+21], s[54:55]  // 
v_cvt_pk_fp8_f32  v20, v12, v13 op_sel:[0,0,0]     // convert two f32 accumulated values to fp8 and save it to lo_16[0:15]
v_cmp_class_f32 s[54:55], v[vgprValuC+22], v16     // check NaN and +/-INF
v_med3_f32 v12, v[vgprValuC+22], v14, v15          // Clipping f32 value if exceeds the limit
v_cndmask_b32 v12, v12, v[vgprValuC+22], s[54:55]  // 
v_cmp_class_f32 s[54:55], v[vgprValuC+23], v16     // check NaN and +/-INF
v_med3_f32 v13, v[vgprValuC+23], v14, v15          // Clipping f32 value if exceeds the limit
v_cndmask_b32 v13, v13, v[vgprValuC+23], s[54:55]  // 
v_cvt_pk_fp8_f32  v20, v12, v13 op_sel:[0,0,1]     // convert two f32 accumulated values to fp8 and save it to hi_16[16:31]
_ds_store_b32 v7, v20, offset:0                    // storeRemap lw
v_cmp_class_f32 s[54:55], v[vgprValuC+24], v16     // check NaN and +/-INF
v_med3_f32 v12, v[vgprValuC+24], v14, v15          // Clipping f32 value if exceeds the limit
v_cndmask_b32 v12, v12, v[vgprValuC+24], s[54:55]  // 
v_cmp_class_f32 s[54:55], v[vgprValuC+25], v16     // check NaN and +/-INF
v_med3_f32 v13, v[vgprValuC+25], v14, v15          // Clipping f32 value if exceeds the limit
v_cndmask_b32 v13, v13, v[vgprValuC+25], s[54:55]  // 
v_cvt_pk_fp8_f32  v24, v12, v13 op_sel:[0,0,0]     // convert two f32 accumulated values to fp8 and save it to lo_16[0:15]
v_cmp_class_f32 s[54:55], v[vgprValuC+26], v16     // check NaN and +/-INF
v_med3_f32 v12, v[vgprValuC+26], v14, v15          // Clipping f32 value if exceeds the limit
v_cndmask_b32 v12, v12, v[vgprValuC+26], s[54:55]  // 
v_cmp_class_f32 s[54:55], v[vgprValuC+27], v16     // check NaN and +/-INF
v_med3_f32 v13, v[vgprValuC+27], v14, v15          // Clipping f32 value if exceeds the limit
v_cndmask_b32 v13, v13, v[vgprValuC+27], s[54:55]  // 
v_cvt_pk_fp8_f32  v24, v12, v13 op_sel:[0,0,1]     // convert two f32 accumulated values to fp8 and save it to hi_16[16:31]
_ds_store_b32 v7, v24, offset:8                    // storeRemap lw
v_cmp_class_f32 s[54:55], v[vgprValuC+28], v16     // check NaN and +/-INF
v_med3_f32 v12, v[vgprValuC+28], v14, v15          // Clipping f32 value if exceeds the limit
v_cndmask_b32 v12, v12, v[vgprValuC+28], s[54:55]  // 
v_cmp_class_f32 s[54:55], v[vgprValuC+29], v16     // check NaN and +/-INF
v_med3_f32 v13, v[vgprValuC+29], v14, v15          // Clipping f32 value if exceeds the limit
v_cndmask_b32 v13, v13, v[vgprValuC+29], s[54:55]  // 
v_cvt_pk_fp8_f32  v28, v12, v13 op_sel:[0,0,0]     // convert two f32 accumulated values to fp8 and save it to lo_16[0:15]
v_cmp_class_f32 s[54:55], v[vgprValuC+30], v16     // check NaN and +/-INF
v_med3_f32 v12, v[vgprValuC+30], v14, v15          // Clipping f32 value if exceeds the limit
v_cndmask_b32 v12, v12, v[vgprValuC+30], s[54:55]  // 
v_cmp_class_f32 s[54:55], v[vgprValuC+31], v16     // check NaN and +/-INF
v_med3_f32 v13, v[vgprValuC+31], v14, v15          // Clipping f32 value if exceeds the limit
v_cndmask_b32 v13, v13, v[vgprValuC+31], s[54:55]  // 
v_cvt_pk_fp8_f32  v28, v12, v13 op_sel:[0,0,1]     // convert two f32 accumulated values to fp8 and save it to hi_16[16:31]
_ds_store_b32 v7, v28, offset:16                   // storeRemap lw
v_cmp_class_f32 s[54:55], v[vgprValuC+32], v16     // check NaN and +/-INF
v_med3_f32 v12, v[vgprValuC+32], v14, v15          // Clipping f32 value if exceeds the limit
v_cndmask_b32 v12, v12, v[vgprValuC+32], s[54:55]  // 
v_cmp_class_f32 s[54:55], v[vgprValuC+33], v16     // check NaN and +/-INF
v_med3_f32 v13, v[vgprValuC+33], v14, v15          // Clipping f32 value if exceeds the limit
v_cndmask_b32 v13, v13, v[vgprValuC+33], s[54:55]  // 
v_cvt_pk_fp8_f32  v32, v12, v13 op_sel:[0,0,0]     // convert two f32 accumulated values to fp8 and save it to lo_16[0:15]
v_cmp_class_f32 s[54:55], v[vgprValuC+34], v16     // check NaN and +/-INF
v_med3_f32 v12, v[vgprValuC+34], v14, v15          // Clipping f32 value if exceeds the limit
v_cndmask_b32 v12, v12, v[vgprValuC+34], s[54:55]  // 
v_cmp_class_f32 s[54:55], v[vgprValuC+35], v16     // check NaN and +/-INF
v_med3_f32 v13, v[vgprValuC+35], v14, v15          // Clipping f32 value if exceeds the limit
v_cndmask_b32 v13, v13, v[vgprValuC+35], s[54:55]  // 
v_cvt_pk_fp8_f32  v32, v12, v13 op_sel:[0,0,1]     // convert two f32 accumulated values to fp8 and save it to hi_16[16:31]
_ds_store_b32 v7, v32, offset:24                   // storeRemap lw
v_cmp_class_f32 s[54:55], v[vgprValuC+36], v16     // check NaN and +/-INF
v_med3_f32 v12, v[vgprValuC+36], v14, v15          // Clipping f32 value if exceeds the limit
v_cndmask_b32 v12, v12, v[vgprValuC+36], s[54:55]  // 
v_cmp_class_f32 s[54:55], v[vgprValuC+37], v16     // check NaN and +/-INF
v_med3_f32 v13, v[vgprValuC+37], v14, v15          // Clipping f32 value if exceeds the limit
v_cndmask_b32 v13, v13, v[vgprValuC+37], s[54:55]  // 
v_cvt_pk_fp8_f32  v36, v12, v13 op_sel:[0,0,0]     // convert two f32 accumulated values to fp8 and save it to lo_16[0:15]
v_cmp_class_f32 s[54:55], v[vgprValuC+38], v16     // check NaN and +/-INF
v_med3_f32 v12, v[vgprValuC+38], v14, v15          // Clipping f32 value if exceeds the limit
v_cndmask_b32 v12, v12, v[vgprValuC+38], s[54:55]  // 
v_cmp_class_f32 s[54:55], v[vgprValuC+39], v16     // check NaN and +/-INF
v_med3_f32 v13, v[vgprValuC+39], v14, v15          // Clipping f32 value if exceeds the limit
v_cndmask_b32 v13, v13, v[vgprValuC+39], s[54:55]  // 
v_cvt_pk_fp8_f32  v36, v12, v13 op_sel:[0,0,1]     // convert two f32 accumulated values to fp8 and save it to hi_16[16:31]
_ds_store_b32 v7, v36, offset:128                  // storeRemap lw
v_cmp_class_f32 s[54:55], v[vgprValuC+40], v16     // check NaN and +/-INF
v_med3_f32 v12, v[vgprValuC+40], v14, v15          // Clipping f32 value if exceeds the limit
v_cndmask_b32 v12, v12, v[vgprValuC+40], s[54:55]  // 
v_cmp_class_f32 s[54:55], v[vgprValuC+41], v16     // check NaN and +/-INF
v_med3_f32 v13, v[vgprValuC+41], v14, v15          // Clipping f32 value if exceeds the limit
v_cndmask_b32 v13, v13, v[vgprValuC+41], s[54:55]  // 
v_cvt_pk_fp8_f32  v40, v12, v13 op_sel:[0,0,0]     // convert two f32 accumulated values to fp8 and save it to lo_16[0:15]
v_cmp_class_f32 s[54:55], v[vgprValuC+42], v16     // check NaN and +/-INF
v_med3_f32 v12, v[vgprValuC+42], v14, v15          // Clipping f32 value if exceeds the limit
v_cndmask_b32 v12, v12, v[vgprValuC+42], s[54:55]  // 
v_cmp_class_f32 s[54:55], v[vgprValuC+43], v16     // check NaN and +/-INF
v_med3_f32 v13, v[vgprValuC+43], v14, v15          // Clipping f32 value if exceeds the limit
v_cndmask_b32 v13, v13, v[vgprValuC+43], s[54:55]  // 
v_cvt_pk_fp8_f32  v40, v12, v13 op_sel:[0,0,1]     // convert two f32 accumulated values to fp8 and save it to hi_16[16:31]
_ds_store_b32 v7, v40, offset:136                  // storeRemap lw
	;; [unrolled: 15-line block ×4, first 2 shown]

/* Handle local read and global write */
s_waitcnt lgkmcnt(0)                               // wait for LDS write
s_barrier //wait all lds write finished

_ds_load_b128 v[20:23], v8, offset:0               // storeRemap lr
_ds_load_b128 v[24:27], v8, offset:1088            // storeRemap lr

v_mov_b32 v18, v6                                  // coord1
v_mul_lo_u32 v18, v18, s[sgprStrideD1J]            // coord1 offset =  coord1 * StrideD
_v_add_lshl_u32 v18, v18, v4, 0x0                  // global write D address
s_waitcnt lgkmcnt(1)                               // wait for LDS read
_buffer_store_b128 v[20:23], v18, s[sgprSrdD:sgprSrdD+3], 0, offen, offset:0 // store D
_v_add_u32 v18, v6, 4                              // coord1 += nColPerLoad
v_mul_lo_u32 v18, v18, s[sgprStrideD1J]            // coord1 offset =  coord1 * StrideD
_v_add_lshl_u32 v18, v18, v4, 0x0                  // global write D address
s_waitcnt lgkmcnt(0)                               // wait for LDS read
_buffer_store_b128 v[24:27], v18, s[sgprSrdD:sgprSrdD+3], 0, offen, offset:0 // store D

s_barrier //wait all lds read finished
s_nop 0                                            // 1 wait state required when next inst writes vgprs held by previous dwordx4 store inst
/* optSingleColVgpr=1 optSharedColVgpr=0 optSGPRUsage=BufferLoad_Mask optSrdIncForRow=1 */

/******************************************/
/* Global Write Batch #4 (d1,d0,vc1,vc0) = */
/*    (4,0,0,0:vw4); (4,1,0,0:vw4); (4,2,0,0:vw4); (4,3,0,0:vw4); (4,4,0,0:vw4); (4,5,0,0:vw4); (4,6,0,0:vw4); (4,7,0,0:vw4) */
/******************************************/

/* calc coords, apply mask, and issue loads (if necessary) */
/* (d1,vc1,d0,vc0)=(4,0,0,0) */
/* (d1,vc1,d0,vc0)=(4,0,1,0) */
	;; [unrolled: 1-line block ×8, first 2 shown]
v_accvgpr_read_b32 v[vgprValuC+20], acc128 // copy acc to vreg[128]
v_accvgpr_read_b32 v[vgprValuC+21], acc129 // copy acc to vreg[129]
v_accvgpr_read_b32 v[vgprValuC+22], acc130 // copy acc to vreg[130]
v_accvgpr_read_b32 v[vgprValuC+23], acc131 // copy acc to vreg[131]
v_accvgpr_read_b32 v[vgprValuC+24], acc132 // copy acc to vreg[132]
v_accvgpr_read_b32 v[vgprValuC+25], acc133 // copy acc to vreg[133]
v_accvgpr_read_b32 v[vgprValuC+26], acc134 // copy acc to vreg[134]
v_accvgpr_read_b32 v[vgprValuC+27], acc135 // copy acc to vreg[135]
v_accvgpr_read_b32 v[vgprValuC+28], acc136 // copy acc to vreg[136]
v_accvgpr_read_b32 v[vgprValuC+29], acc137 // copy acc to vreg[137]
v_accvgpr_read_b32 v[vgprValuC+30], acc138 // copy acc to vreg[138]
v_accvgpr_read_b32 v[vgprValuC+31], acc139 // copy acc to vreg[139]
v_accvgpr_read_b32 v[vgprValuC+32], acc140 // copy acc to vreg[140]
v_accvgpr_read_b32 v[vgprValuC+33], acc141 // copy acc to vreg[141]
v_accvgpr_read_b32 v[vgprValuC+34], acc142 // copy acc to vreg[142]
v_accvgpr_read_b32 v[vgprValuC+35], acc143 // copy acc to vreg[143]
v_accvgpr_read_b32 v[vgprValuC+36], acc144 // copy acc to vreg[144]
v_accvgpr_read_b32 v[vgprValuC+37], acc145 // copy acc to vreg[145]
v_accvgpr_read_b32 v[vgprValuC+38], acc146 // copy acc to vreg[146]
v_accvgpr_read_b32 v[vgprValuC+39], acc147 // copy acc to vreg[147]
v_accvgpr_read_b32 v[vgprValuC+40], acc148 // copy acc to vreg[148]
v_accvgpr_read_b32 v[vgprValuC+41], acc149 // copy acc to vreg[149]
v_accvgpr_read_b32 v[vgprValuC+42], acc150 // copy acc to vreg[150]
v_accvgpr_read_b32 v[vgprValuC+43], acc151 // copy acc to vreg[151]
v_accvgpr_read_b32 v[vgprValuC+44], acc152 // copy acc to vreg[152]
v_accvgpr_read_b32 v[vgprValuC+45], acc153 // copy acc to vreg[153]
v_accvgpr_read_b32 v[vgprValuC+46], acc154 // copy acc to vreg[154]
v_accvgpr_read_b32 v[vgprValuC+47], acc155 // copy acc to vreg[155]
v_accvgpr_read_b32 v[vgprValuC+48], acc156 // copy acc to vreg[156]
v_accvgpr_read_b32 v[vgprValuC+49], acc157 // copy acc to vreg[157]
v_accvgpr_read_b32 v[vgprValuC+50], acc158 // copy acc to vreg[158]
v_accvgpr_read_b32 v[vgprValuC+51], acc159 // copy acc to vreg[159]
s_nop 1                                            // 2 wait states required before reading vgpr

/* apply mask, calc new C and issue writes */
v_mov_b32 v16, 0x207                               // flag for Nan and +/- inf
v_mov_b32 v14, 0x43700000                          // save 240.0f as max for clipping
v_mov_b32 v15, 0xC3700000                          // save -240.0f as min for clipping

/* StoreRemap: shift coord1 address */
s_mul_i32 s54, s[sgprStrideD1J], 32                // scale StrideD *= numRows(32) * bpe
s_add_u32  s[sgprSrdD+0], s[sgprSrdD+0], s54       // incToNextRow: gra SRD += inc(lower)
s_addc_u32  s[sgprSrdD+1], s[sgprSrdD+1], 0        // incToNextRow: gra SRD += inc(upper)
v_mov_b32 v10, 32                                  // set shift rows
_v_add_u32 v5, v5, v10                             // shift storeRemap coord1
v_cmp_class_f32 s[54:55], v[vgprValuC+20], v16     // check NaN and +/-INF
v_med3_f32 v12, v[vgprValuC+20], v14, v15          // Clipping f32 value if exceeds the limit
v_cndmask_b32 v12, v12, v[vgprValuC+20], s[54:55]  // 
v_cmp_class_f32 s[54:55], v[vgprValuC+21], v16     // check NaN and +/-INF
v_med3_f32 v13, v[vgprValuC+21], v14, v15          // Clipping f32 value if exceeds the limit
v_cndmask_b32 v13, v13, v[vgprValuC+21], s[54:55]  // 
v_cvt_pk_fp8_f32  v20, v12, v13 op_sel:[0,0,0]     // convert two f32 accumulated values to fp8 and save it to lo_16[0:15]
v_cmp_class_f32 s[54:55], v[vgprValuC+22], v16     // check NaN and +/-INF
v_med3_f32 v12, v[vgprValuC+22], v14, v15          // Clipping f32 value if exceeds the limit
v_cndmask_b32 v12, v12, v[vgprValuC+22], s[54:55]  // 
v_cmp_class_f32 s[54:55], v[vgprValuC+23], v16     // check NaN and +/-INF
v_med3_f32 v13, v[vgprValuC+23], v14, v15          // Clipping f32 value if exceeds the limit
v_cndmask_b32 v13, v13, v[vgprValuC+23], s[54:55]  // 
v_cvt_pk_fp8_f32  v20, v12, v13 op_sel:[0,0,1]     // convert two f32 accumulated values to fp8 and save it to hi_16[16:31]
_ds_store_b32 v7, v20, offset:0                    // storeRemap lw
v_cmp_class_f32 s[54:55], v[vgprValuC+24], v16     // check NaN and +/-INF
v_med3_f32 v12, v[vgprValuC+24], v14, v15          // Clipping f32 value if exceeds the limit
v_cndmask_b32 v12, v12, v[vgprValuC+24], s[54:55]  // 
v_cmp_class_f32 s[54:55], v[vgprValuC+25], v16     // check NaN and +/-INF
v_med3_f32 v13, v[vgprValuC+25], v14, v15          // Clipping f32 value if exceeds the limit
v_cndmask_b32 v13, v13, v[vgprValuC+25], s[54:55]  // 
v_cvt_pk_fp8_f32  v24, v12, v13 op_sel:[0,0,0]     // convert two f32 accumulated values to fp8 and save it to lo_16[0:15]
v_cmp_class_f32 s[54:55], v[vgprValuC+26], v16     // check NaN and +/-INF
v_med3_f32 v12, v[vgprValuC+26], v14, v15          // Clipping f32 value if exceeds the limit
v_cndmask_b32 v12, v12, v[vgprValuC+26], s[54:55]  // 
v_cmp_class_f32 s[54:55], v[vgprValuC+27], v16     // check NaN and +/-INF
v_med3_f32 v13, v[vgprValuC+27], v14, v15          // Clipping f32 value if exceeds the limit
v_cndmask_b32 v13, v13, v[vgprValuC+27], s[54:55]  // 
v_cvt_pk_fp8_f32  v24, v12, v13 op_sel:[0,0,1]     // convert two f32 accumulated values to fp8 and save it to hi_16[16:31]
_ds_store_b32 v7, v24, offset:8                    // storeRemap lw
v_cmp_class_f32 s[54:55], v[vgprValuC+28], v16     // check NaN and +/-INF
v_med3_f32 v12, v[vgprValuC+28], v14, v15          // Clipping f32 value if exceeds the limit
v_cndmask_b32 v12, v12, v[vgprValuC+28], s[54:55]  // 
v_cmp_class_f32 s[54:55], v[vgprValuC+29], v16     // check NaN and +/-INF
v_med3_f32 v13, v[vgprValuC+29], v14, v15          // Clipping f32 value if exceeds the limit
v_cndmask_b32 v13, v13, v[vgprValuC+29], s[54:55]  // 
v_cvt_pk_fp8_f32  v28, v12, v13 op_sel:[0,0,0]     // convert two f32 accumulated values to fp8 and save it to lo_16[0:15]
v_cmp_class_f32 s[54:55], v[vgprValuC+30], v16     // check NaN and +/-INF
v_med3_f32 v12, v[vgprValuC+30], v14, v15          // Clipping f32 value if exceeds the limit
v_cndmask_b32 v12, v12, v[vgprValuC+30], s[54:55]  // 
v_cmp_class_f32 s[54:55], v[vgprValuC+31], v16     // check NaN and +/-INF
v_med3_f32 v13, v[vgprValuC+31], v14, v15          // Clipping f32 value if exceeds the limit
v_cndmask_b32 v13, v13, v[vgprValuC+31], s[54:55]  // 
v_cvt_pk_fp8_f32  v28, v12, v13 op_sel:[0,0,1]     // convert two f32 accumulated values to fp8 and save it to hi_16[16:31]
_ds_store_b32 v7, v28, offset:16                   // storeRemap lw
v_cmp_class_f32 s[54:55], v[vgprValuC+32], v16     // check NaN and +/-INF
v_med3_f32 v12, v[vgprValuC+32], v14, v15          // Clipping f32 value if exceeds the limit
v_cndmask_b32 v12, v12, v[vgprValuC+32], s[54:55]  // 
v_cmp_class_f32 s[54:55], v[vgprValuC+33], v16     // check NaN and +/-INF
v_med3_f32 v13, v[vgprValuC+33], v14, v15          // Clipping f32 value if exceeds the limit
v_cndmask_b32 v13, v13, v[vgprValuC+33], s[54:55]  // 
v_cvt_pk_fp8_f32  v32, v12, v13 op_sel:[0,0,0]     // convert two f32 accumulated values to fp8 and save it to lo_16[0:15]
v_cmp_class_f32 s[54:55], v[vgprValuC+34], v16     // check NaN and +/-INF
v_med3_f32 v12, v[vgprValuC+34], v14, v15          // Clipping f32 value if exceeds the limit
v_cndmask_b32 v12, v12, v[vgprValuC+34], s[54:55]  // 
v_cmp_class_f32 s[54:55], v[vgprValuC+35], v16     // check NaN and +/-INF
v_med3_f32 v13, v[vgprValuC+35], v14, v15          // Clipping f32 value if exceeds the limit
v_cndmask_b32 v13, v13, v[vgprValuC+35], s[54:55]  // 
v_cvt_pk_fp8_f32  v32, v12, v13 op_sel:[0,0,1]     // convert two f32 accumulated values to fp8 and save it to hi_16[16:31]
_ds_store_b32 v7, v32, offset:24                   // storeRemap lw
v_cmp_class_f32 s[54:55], v[vgprValuC+36], v16     // check NaN and +/-INF
v_med3_f32 v12, v[vgprValuC+36], v14, v15          // Clipping f32 value if exceeds the limit
v_cndmask_b32 v12, v12, v[vgprValuC+36], s[54:55]  // 
v_cmp_class_f32 s[54:55], v[vgprValuC+37], v16     // check NaN and +/-INF
v_med3_f32 v13, v[vgprValuC+37], v14, v15          // Clipping f32 value if exceeds the limit
v_cndmask_b32 v13, v13, v[vgprValuC+37], s[54:55]  // 
v_cvt_pk_fp8_f32  v36, v12, v13 op_sel:[0,0,0]     // convert two f32 accumulated values to fp8 and save it to lo_16[0:15]
v_cmp_class_f32 s[54:55], v[vgprValuC+38], v16     // check NaN and +/-INF
v_med3_f32 v12, v[vgprValuC+38], v14, v15          // Clipping f32 value if exceeds the limit
v_cndmask_b32 v12, v12, v[vgprValuC+38], s[54:55]  // 
v_cmp_class_f32 s[54:55], v[vgprValuC+39], v16     // check NaN and +/-INF
v_med3_f32 v13, v[vgprValuC+39], v14, v15          // Clipping f32 value if exceeds the limit
v_cndmask_b32 v13, v13, v[vgprValuC+39], s[54:55]  // 
v_cvt_pk_fp8_f32  v36, v12, v13 op_sel:[0,0,1]     // convert two f32 accumulated values to fp8 and save it to hi_16[16:31]
_ds_store_b32 v7, v36, offset:128                  // storeRemap lw
v_cmp_class_f32 s[54:55], v[vgprValuC+40], v16     // check NaN and +/-INF
v_med3_f32 v12, v[vgprValuC+40], v14, v15          // Clipping f32 value if exceeds the limit
v_cndmask_b32 v12, v12, v[vgprValuC+40], s[54:55]  // 
v_cmp_class_f32 s[54:55], v[vgprValuC+41], v16     // check NaN and +/-INF
v_med3_f32 v13, v[vgprValuC+41], v14, v15          // Clipping f32 value if exceeds the limit
v_cndmask_b32 v13, v13, v[vgprValuC+41], s[54:55]  // 
v_cvt_pk_fp8_f32  v40, v12, v13 op_sel:[0,0,0]     // convert two f32 accumulated values to fp8 and save it to lo_16[0:15]
v_cmp_class_f32 s[54:55], v[vgprValuC+42], v16     // check NaN and +/-INF
v_med3_f32 v12, v[vgprValuC+42], v14, v15          // Clipping f32 value if exceeds the limit
v_cndmask_b32 v12, v12, v[vgprValuC+42], s[54:55]  // 
v_cmp_class_f32 s[54:55], v[vgprValuC+43], v16     // check NaN and +/-INF
v_med3_f32 v13, v[vgprValuC+43], v14, v15          // Clipping f32 value if exceeds the limit
v_cndmask_b32 v13, v13, v[vgprValuC+43], s[54:55]  // 
v_cvt_pk_fp8_f32  v40, v12, v13 op_sel:[0,0,1]     // convert two f32 accumulated values to fp8 and save it to hi_16[16:31]
_ds_store_b32 v7, v40, offset:136                  // storeRemap lw
	;; [unrolled: 15-line block ×4, first 2 shown]

/* Handle local read and global write */
s_waitcnt lgkmcnt(0)                               // wait for LDS write
s_barrier //wait all lds write finished

_ds_load_b128 v[20:23], v8, offset:0               // storeRemap lr
_ds_load_b128 v[24:27], v8, offset:1088            // storeRemap lr

v_mov_b32 v18, v6                                  // coord1
v_mul_lo_u32 v18, v18, s[sgprStrideD1J]            // coord1 offset =  coord1 * StrideD
_v_add_lshl_u32 v18, v18, v4, 0x0                  // global write D address
s_waitcnt lgkmcnt(1)                               // wait for LDS read
_buffer_store_b128 v[20:23], v18, s[sgprSrdD:sgprSrdD+3], 0, offen, offset:0 // store D
_v_add_u32 v18, v6, 4                              // coord1 += nColPerLoad
v_mul_lo_u32 v18, v18, s[sgprStrideD1J]            // coord1 offset =  coord1 * StrideD
_v_add_lshl_u32 v18, v18, v4, 0x0                  // global write D address
s_waitcnt lgkmcnt(0)                               // wait for LDS read
_buffer_store_b128 v[24:27], v18, s[sgprSrdD:sgprSrdD+3], 0, offen, offset:0 // store D

s_barrier //wait all lds read finished
s_nop 0                                            // 1 wait state required when next inst writes vgprs held by previous dwordx4 store inst
/* optSingleColVgpr=1 optSharedColVgpr=0 optSGPRUsage=BufferLoad_Mask optSrdIncForRow=1 */

/******************************************/
/* Global Write Batch #5 (d1,d0,vc1,vc0) = */
/*    (5,0,0,0:vw4); (5,1,0,0:vw4); (5,2,0,0:vw4); (5,3,0,0:vw4); (5,4,0,0:vw4); (5,5,0,0:vw4); (5,6,0,0:vw4); (5,7,0,0:vw4) */
/******************************************/

/* calc coords, apply mask, and issue loads (if necessary) */
/* (d1,vc1,d0,vc0)=(5,0,0,0) */
/* (d1,vc1,d0,vc0)=(5,0,1,0) */
	;; [unrolled: 1-line block ×8, first 2 shown]
v_accvgpr_read_b32 v[vgprValuC+20], acc160 // copy acc to vreg[160]
v_accvgpr_read_b32 v[vgprValuC+21], acc161 // copy acc to vreg[161]
v_accvgpr_read_b32 v[vgprValuC+22], acc162 // copy acc to vreg[162]
v_accvgpr_read_b32 v[vgprValuC+23], acc163 // copy acc to vreg[163]
v_accvgpr_read_b32 v[vgprValuC+24], acc164 // copy acc to vreg[164]
v_accvgpr_read_b32 v[vgprValuC+25], acc165 // copy acc to vreg[165]
v_accvgpr_read_b32 v[vgprValuC+26], acc166 // copy acc to vreg[166]
v_accvgpr_read_b32 v[vgprValuC+27], acc167 // copy acc to vreg[167]
v_accvgpr_read_b32 v[vgprValuC+28], acc168 // copy acc to vreg[168]
v_accvgpr_read_b32 v[vgprValuC+29], acc169 // copy acc to vreg[169]
v_accvgpr_read_b32 v[vgprValuC+30], acc170 // copy acc to vreg[170]
v_accvgpr_read_b32 v[vgprValuC+31], acc171 // copy acc to vreg[171]
v_accvgpr_read_b32 v[vgprValuC+32], acc172 // copy acc to vreg[172]
v_accvgpr_read_b32 v[vgprValuC+33], acc173 // copy acc to vreg[173]
v_accvgpr_read_b32 v[vgprValuC+34], acc174 // copy acc to vreg[174]
v_accvgpr_read_b32 v[vgprValuC+35], acc175 // copy acc to vreg[175]
v_accvgpr_read_b32 v[vgprValuC+36], acc176 // copy acc to vreg[176]
v_accvgpr_read_b32 v[vgprValuC+37], acc177 // copy acc to vreg[177]
v_accvgpr_read_b32 v[vgprValuC+38], acc178 // copy acc to vreg[178]
v_accvgpr_read_b32 v[vgprValuC+39], acc179 // copy acc to vreg[179]
v_accvgpr_read_b32 v[vgprValuC+40], acc180 // copy acc to vreg[180]
v_accvgpr_read_b32 v[vgprValuC+41], acc181 // copy acc to vreg[181]
v_accvgpr_read_b32 v[vgprValuC+42], acc182 // copy acc to vreg[182]
v_accvgpr_read_b32 v[vgprValuC+43], acc183 // copy acc to vreg[183]
v_accvgpr_read_b32 v[vgprValuC+44], acc184 // copy acc to vreg[184]
v_accvgpr_read_b32 v[vgprValuC+45], acc185 // copy acc to vreg[185]
v_accvgpr_read_b32 v[vgprValuC+46], acc186 // copy acc to vreg[186]
v_accvgpr_read_b32 v[vgprValuC+47], acc187 // copy acc to vreg[187]
v_accvgpr_read_b32 v[vgprValuC+48], acc188 // copy acc to vreg[188]
v_accvgpr_read_b32 v[vgprValuC+49], acc189 // copy acc to vreg[189]
v_accvgpr_read_b32 v[vgprValuC+50], acc190 // copy acc to vreg[190]
v_accvgpr_read_b32 v[vgprValuC+51], acc191 // copy acc to vreg[191]
s_nop 1                                            // 2 wait states required before reading vgpr

/* apply mask, calc new C and issue writes */
v_mov_b32 v16, 0x207                               // flag for Nan and +/- inf
v_mov_b32 v14, 0x43700000                          // save 240.0f as max for clipping
v_mov_b32 v15, 0xC3700000                          // save -240.0f as min for clipping

/* StoreRemap: shift coord1 address */
s_mul_i32 s54, s[sgprStrideD1J], 32                // scale StrideD *= numRows(32) * bpe
s_add_u32  s[sgprSrdD+0], s[sgprSrdD+0], s54       // incToNextRow: gra SRD += inc(lower)
s_addc_u32  s[sgprSrdD+1], s[sgprSrdD+1], 0        // incToNextRow: gra SRD += inc(upper)
v_mov_b32 v10, 32                                  // set shift rows
_v_add_u32 v5, v5, v10                             // shift storeRemap coord1
v_cmp_class_f32 s[54:55], v[vgprValuC+20], v16     // check NaN and +/-INF
v_med3_f32 v12, v[vgprValuC+20], v14, v15          // Clipping f32 value if exceeds the limit
v_cndmask_b32 v12, v12, v[vgprValuC+20], s[54:55]  // 
v_cmp_class_f32 s[54:55], v[vgprValuC+21], v16     // check NaN and +/-INF
v_med3_f32 v13, v[vgprValuC+21], v14, v15          // Clipping f32 value if exceeds the limit
v_cndmask_b32 v13, v13, v[vgprValuC+21], s[54:55]  // 
v_cvt_pk_fp8_f32  v20, v12, v13 op_sel:[0,0,0]     // convert two f32 accumulated values to fp8 and save it to lo_16[0:15]
v_cmp_class_f32 s[54:55], v[vgprValuC+22], v16     // check NaN and +/-INF
v_med3_f32 v12, v[vgprValuC+22], v14, v15          // Clipping f32 value if exceeds the limit
v_cndmask_b32 v12, v12, v[vgprValuC+22], s[54:55]  // 
v_cmp_class_f32 s[54:55], v[vgprValuC+23], v16     // check NaN and +/-INF
v_med3_f32 v13, v[vgprValuC+23], v14, v15          // Clipping f32 value if exceeds the limit
v_cndmask_b32 v13, v13, v[vgprValuC+23], s[54:55]  // 
v_cvt_pk_fp8_f32  v20, v12, v13 op_sel:[0,0,1]     // convert two f32 accumulated values to fp8 and save it to hi_16[16:31]
_ds_store_b32 v7, v20, offset:0                    // storeRemap lw
v_cmp_class_f32 s[54:55], v[vgprValuC+24], v16     // check NaN and +/-INF
v_med3_f32 v12, v[vgprValuC+24], v14, v15          // Clipping f32 value if exceeds the limit
v_cndmask_b32 v12, v12, v[vgprValuC+24], s[54:55]  // 
v_cmp_class_f32 s[54:55], v[vgprValuC+25], v16     // check NaN and +/-INF
v_med3_f32 v13, v[vgprValuC+25], v14, v15          // Clipping f32 value if exceeds the limit
v_cndmask_b32 v13, v13, v[vgprValuC+25], s[54:55]  // 
v_cvt_pk_fp8_f32  v24, v12, v13 op_sel:[0,0,0]     // convert two f32 accumulated values to fp8 and save it to lo_16[0:15]
v_cmp_class_f32 s[54:55], v[vgprValuC+26], v16     // check NaN and +/-INF
v_med3_f32 v12, v[vgprValuC+26], v14, v15          // Clipping f32 value if exceeds the limit
v_cndmask_b32 v12, v12, v[vgprValuC+26], s[54:55]  // 
v_cmp_class_f32 s[54:55], v[vgprValuC+27], v16     // check NaN and +/-INF
v_med3_f32 v13, v[vgprValuC+27], v14, v15          // Clipping f32 value if exceeds the limit
v_cndmask_b32 v13, v13, v[vgprValuC+27], s[54:55]  // 
v_cvt_pk_fp8_f32  v24, v12, v13 op_sel:[0,0,1]     // convert two f32 accumulated values to fp8 and save it to hi_16[16:31]
_ds_store_b32 v7, v24, offset:8                    // storeRemap lw
v_cmp_class_f32 s[54:55], v[vgprValuC+28], v16     // check NaN and +/-INF
v_med3_f32 v12, v[vgprValuC+28], v14, v15          // Clipping f32 value if exceeds the limit
v_cndmask_b32 v12, v12, v[vgprValuC+28], s[54:55]  // 
v_cmp_class_f32 s[54:55], v[vgprValuC+29], v16     // check NaN and +/-INF
v_med3_f32 v13, v[vgprValuC+29], v14, v15          // Clipping f32 value if exceeds the limit
v_cndmask_b32 v13, v13, v[vgprValuC+29], s[54:55]  // 
v_cvt_pk_fp8_f32  v28, v12, v13 op_sel:[0,0,0]     // convert two f32 accumulated values to fp8 and save it to lo_16[0:15]
v_cmp_class_f32 s[54:55], v[vgprValuC+30], v16     // check NaN and +/-INF
v_med3_f32 v12, v[vgprValuC+30], v14, v15          // Clipping f32 value if exceeds the limit
v_cndmask_b32 v12, v12, v[vgprValuC+30], s[54:55]  // 
v_cmp_class_f32 s[54:55], v[vgprValuC+31], v16     // check NaN and +/-INF
v_med3_f32 v13, v[vgprValuC+31], v14, v15          // Clipping f32 value if exceeds the limit
v_cndmask_b32 v13, v13, v[vgprValuC+31], s[54:55]  // 
v_cvt_pk_fp8_f32  v28, v12, v13 op_sel:[0,0,1]     // convert two f32 accumulated values to fp8 and save it to hi_16[16:31]
_ds_store_b32 v7, v28, offset:16                   // storeRemap lw
v_cmp_class_f32 s[54:55], v[vgprValuC+32], v16     // check NaN and +/-INF
v_med3_f32 v12, v[vgprValuC+32], v14, v15          // Clipping f32 value if exceeds the limit
v_cndmask_b32 v12, v12, v[vgprValuC+32], s[54:55]  // 
v_cmp_class_f32 s[54:55], v[vgprValuC+33], v16     // check NaN and +/-INF
v_med3_f32 v13, v[vgprValuC+33], v14, v15          // Clipping f32 value if exceeds the limit
v_cndmask_b32 v13, v13, v[vgprValuC+33], s[54:55]  // 
v_cvt_pk_fp8_f32  v32, v12, v13 op_sel:[0,0,0]     // convert two f32 accumulated values to fp8 and save it to lo_16[0:15]
v_cmp_class_f32 s[54:55], v[vgprValuC+34], v16     // check NaN and +/-INF
v_med3_f32 v12, v[vgprValuC+34], v14, v15          // Clipping f32 value if exceeds the limit
v_cndmask_b32 v12, v12, v[vgprValuC+34], s[54:55]  // 
v_cmp_class_f32 s[54:55], v[vgprValuC+35], v16     // check NaN and +/-INF
v_med3_f32 v13, v[vgprValuC+35], v14, v15          // Clipping f32 value if exceeds the limit
v_cndmask_b32 v13, v13, v[vgprValuC+35], s[54:55]  // 
v_cvt_pk_fp8_f32  v32, v12, v13 op_sel:[0,0,1]     // convert two f32 accumulated values to fp8 and save it to hi_16[16:31]
_ds_store_b32 v7, v32, offset:24                   // storeRemap lw
v_cmp_class_f32 s[54:55], v[vgprValuC+36], v16     // check NaN and +/-INF
v_med3_f32 v12, v[vgprValuC+36], v14, v15          // Clipping f32 value if exceeds the limit
v_cndmask_b32 v12, v12, v[vgprValuC+36], s[54:55]  // 
v_cmp_class_f32 s[54:55], v[vgprValuC+37], v16     // check NaN and +/-INF
v_med3_f32 v13, v[vgprValuC+37], v14, v15          // Clipping f32 value if exceeds the limit
v_cndmask_b32 v13, v13, v[vgprValuC+37], s[54:55]  // 
v_cvt_pk_fp8_f32  v36, v12, v13 op_sel:[0,0,0]     // convert two f32 accumulated values to fp8 and save it to lo_16[0:15]
v_cmp_class_f32 s[54:55], v[vgprValuC+38], v16     // check NaN and +/-INF
v_med3_f32 v12, v[vgprValuC+38], v14, v15          // Clipping f32 value if exceeds the limit
v_cndmask_b32 v12, v12, v[vgprValuC+38], s[54:55]  // 
v_cmp_class_f32 s[54:55], v[vgprValuC+39], v16     // check NaN and +/-INF
v_med3_f32 v13, v[vgprValuC+39], v14, v15          // Clipping f32 value if exceeds the limit
v_cndmask_b32 v13, v13, v[vgprValuC+39], s[54:55]  // 
v_cvt_pk_fp8_f32  v36, v12, v13 op_sel:[0,0,1]     // convert two f32 accumulated values to fp8 and save it to hi_16[16:31]
_ds_store_b32 v7, v36, offset:128                  // storeRemap lw
v_cmp_class_f32 s[54:55], v[vgprValuC+40], v16     // check NaN and +/-INF
v_med3_f32 v12, v[vgprValuC+40], v14, v15          // Clipping f32 value if exceeds the limit
v_cndmask_b32 v12, v12, v[vgprValuC+40], s[54:55]  // 
v_cmp_class_f32 s[54:55], v[vgprValuC+41], v16     // check NaN and +/-INF
v_med3_f32 v13, v[vgprValuC+41], v14, v15          // Clipping f32 value if exceeds the limit
v_cndmask_b32 v13, v13, v[vgprValuC+41], s[54:55]  // 
v_cvt_pk_fp8_f32  v40, v12, v13 op_sel:[0,0,0]     // convert two f32 accumulated values to fp8 and save it to lo_16[0:15]
v_cmp_class_f32 s[54:55], v[vgprValuC+42], v16     // check NaN and +/-INF
v_med3_f32 v12, v[vgprValuC+42], v14, v15          // Clipping f32 value if exceeds the limit
v_cndmask_b32 v12, v12, v[vgprValuC+42], s[54:55]  // 
v_cmp_class_f32 s[54:55], v[vgprValuC+43], v16     // check NaN and +/-INF
v_med3_f32 v13, v[vgprValuC+43], v14, v15          // Clipping f32 value if exceeds the limit
v_cndmask_b32 v13, v13, v[vgprValuC+43], s[54:55]  // 
v_cvt_pk_fp8_f32  v40, v12, v13 op_sel:[0,0,1]     // convert two f32 accumulated values to fp8 and save it to hi_16[16:31]
_ds_store_b32 v7, v40, offset:136                  // storeRemap lw
	;; [unrolled: 15-line block ×4, first 2 shown]

/* Handle local read and global write */
s_waitcnt lgkmcnt(0)                               // wait for LDS write
s_barrier //wait all lds write finished

_ds_load_b128 v[20:23], v8, offset:0               // storeRemap lr
_ds_load_b128 v[24:27], v8, offset:1088            // storeRemap lr

v_mov_b32 v18, v6                                  // coord1
v_mul_lo_u32 v18, v18, s[sgprStrideD1J]            // coord1 offset =  coord1 * StrideD
_v_add_lshl_u32 v18, v18, v4, 0x0                  // global write D address
s_waitcnt lgkmcnt(1)                               // wait for LDS read
_buffer_store_b128 v[20:23], v18, s[sgprSrdD:sgprSrdD+3], 0, offen, offset:0 // store D
_v_add_u32 v18, v6, 4                              // coord1 += nColPerLoad
v_mul_lo_u32 v18, v18, s[sgprStrideD1J]            // coord1 offset =  coord1 * StrideD
_v_add_lshl_u32 v18, v18, v4, 0x0                  // global write D address
s_waitcnt lgkmcnt(0)                               // wait for LDS read
_buffer_store_b128 v[24:27], v18, s[sgprSrdD:sgprSrdD+3], 0, offen, offset:0 // store D

s_barrier //wait all lds read finished
s_nop 0                                            // 1 wait state required when next inst writes vgprs held by previous dwordx4 store inst
/* optSingleColVgpr=1 optSharedColVgpr=0 optSGPRUsage=BufferLoad_Mask optSrdIncForRow=1 */

/******************************************/
/* Global Write Batch #6 (d1,d0,vc1,vc0) = */
/*    (6,0,0,0:vw4); (6,1,0,0:vw4); (6,2,0,0:vw4); (6,3,0,0:vw4); (6,4,0,0:vw4); (6,5,0,0:vw4); (6,6,0,0:vw4); (6,7,0,0:vw4) */
/******************************************/

/* calc coords, apply mask, and issue loads (if necessary) */
/* (d1,vc1,d0,vc0)=(6,0,0,0) */
/* (d1,vc1,d0,vc0)=(6,0,1,0) */
	;; [unrolled: 1-line block ×8, first 2 shown]
v_accvgpr_read_b32 v[vgprValuC+20], acc192 // copy acc to vreg[192]
v_accvgpr_read_b32 v[vgprValuC+21], acc193 // copy acc to vreg[193]
v_accvgpr_read_b32 v[vgprValuC+22], acc194 // copy acc to vreg[194]
v_accvgpr_read_b32 v[vgprValuC+23], acc195 // copy acc to vreg[195]
v_accvgpr_read_b32 v[vgprValuC+24], acc196 // copy acc to vreg[196]
v_accvgpr_read_b32 v[vgprValuC+25], acc197 // copy acc to vreg[197]
v_accvgpr_read_b32 v[vgprValuC+26], acc198 // copy acc to vreg[198]
v_accvgpr_read_b32 v[vgprValuC+27], acc199 // copy acc to vreg[199]
v_accvgpr_read_b32 v[vgprValuC+28], acc200 // copy acc to vreg[200]
v_accvgpr_read_b32 v[vgprValuC+29], acc201 // copy acc to vreg[201]
v_accvgpr_read_b32 v[vgprValuC+30], acc202 // copy acc to vreg[202]
v_accvgpr_read_b32 v[vgprValuC+31], acc203 // copy acc to vreg[203]
v_accvgpr_read_b32 v[vgprValuC+32], acc204 // copy acc to vreg[204]
v_accvgpr_read_b32 v[vgprValuC+33], acc205 // copy acc to vreg[205]
v_accvgpr_read_b32 v[vgprValuC+34], acc206 // copy acc to vreg[206]
v_accvgpr_read_b32 v[vgprValuC+35], acc207 // copy acc to vreg[207]
v_accvgpr_read_b32 v[vgprValuC+36], acc208 // copy acc to vreg[208]
v_accvgpr_read_b32 v[vgprValuC+37], acc209 // copy acc to vreg[209]
v_accvgpr_read_b32 v[vgprValuC+38], acc210 // copy acc to vreg[210]
v_accvgpr_read_b32 v[vgprValuC+39], acc211 // copy acc to vreg[211]
v_accvgpr_read_b32 v[vgprValuC+40], acc212 // copy acc to vreg[212]
v_accvgpr_read_b32 v[vgprValuC+41], acc213 // copy acc to vreg[213]
v_accvgpr_read_b32 v[vgprValuC+42], acc214 // copy acc to vreg[214]
v_accvgpr_read_b32 v[vgprValuC+43], acc215 // copy acc to vreg[215]
v_accvgpr_read_b32 v[vgprValuC+44], acc216 // copy acc to vreg[216]
v_accvgpr_read_b32 v[vgprValuC+45], acc217 // copy acc to vreg[217]
v_accvgpr_read_b32 v[vgprValuC+46], acc218 // copy acc to vreg[218]
v_accvgpr_read_b32 v[vgprValuC+47], acc219 // copy acc to vreg[219]
v_accvgpr_read_b32 v[vgprValuC+48], acc220 // copy acc to vreg[220]
v_accvgpr_read_b32 v[vgprValuC+49], acc221 // copy acc to vreg[221]
v_accvgpr_read_b32 v[vgprValuC+50], acc222 // copy acc to vreg[222]
v_accvgpr_read_b32 v[vgprValuC+51], acc223 // copy acc to vreg[223]
s_nop 1                                            // 2 wait states required before reading vgpr

/* apply mask, calc new C and issue writes */
v_mov_b32 v16, 0x207                               // flag for Nan and +/- inf
v_mov_b32 v14, 0x43700000                          // save 240.0f as max for clipping
v_mov_b32 v15, 0xC3700000                          // save -240.0f as min for clipping

/* StoreRemap: shift coord1 address */
s_mul_i32 s54, s[sgprStrideD1J], 32                // scale StrideD *= numRows(32) * bpe
s_add_u32  s[sgprSrdD+0], s[sgprSrdD+0], s54       // incToNextRow: gra SRD += inc(lower)
s_addc_u32  s[sgprSrdD+1], s[sgprSrdD+1], 0        // incToNextRow: gra SRD += inc(upper)
v_mov_b32 v10, 32                                  // set shift rows
_v_add_u32 v5, v5, v10                             // shift storeRemap coord1
v_cmp_class_f32 s[54:55], v[vgprValuC+20], v16     // check NaN and +/-INF
v_med3_f32 v12, v[vgprValuC+20], v14, v15          // Clipping f32 value if exceeds the limit
v_cndmask_b32 v12, v12, v[vgprValuC+20], s[54:55]  // 
v_cmp_class_f32 s[54:55], v[vgprValuC+21], v16     // check NaN and +/-INF
v_med3_f32 v13, v[vgprValuC+21], v14, v15          // Clipping f32 value if exceeds the limit
v_cndmask_b32 v13, v13, v[vgprValuC+21], s[54:55]  // 
v_cvt_pk_fp8_f32  v20, v12, v13 op_sel:[0,0,0]     // convert two f32 accumulated values to fp8 and save it to lo_16[0:15]
v_cmp_class_f32 s[54:55], v[vgprValuC+22], v16     // check NaN and +/-INF
v_med3_f32 v12, v[vgprValuC+22], v14, v15          // Clipping f32 value if exceeds the limit
v_cndmask_b32 v12, v12, v[vgprValuC+22], s[54:55]  // 
v_cmp_class_f32 s[54:55], v[vgprValuC+23], v16     // check NaN and +/-INF
v_med3_f32 v13, v[vgprValuC+23], v14, v15          // Clipping f32 value if exceeds the limit
v_cndmask_b32 v13, v13, v[vgprValuC+23], s[54:55]  // 
v_cvt_pk_fp8_f32  v20, v12, v13 op_sel:[0,0,1]     // convert two f32 accumulated values to fp8 and save it to hi_16[16:31]
_ds_store_b32 v7, v20, offset:0                    // storeRemap lw
v_cmp_class_f32 s[54:55], v[vgprValuC+24], v16     // check NaN and +/-INF
v_med3_f32 v12, v[vgprValuC+24], v14, v15          // Clipping f32 value if exceeds the limit
v_cndmask_b32 v12, v12, v[vgprValuC+24], s[54:55]  // 
v_cmp_class_f32 s[54:55], v[vgprValuC+25], v16     // check NaN and +/-INF
v_med3_f32 v13, v[vgprValuC+25], v14, v15          // Clipping f32 value if exceeds the limit
v_cndmask_b32 v13, v13, v[vgprValuC+25], s[54:55]  // 
v_cvt_pk_fp8_f32  v24, v12, v13 op_sel:[0,0,0]     // convert two f32 accumulated values to fp8 and save it to lo_16[0:15]
v_cmp_class_f32 s[54:55], v[vgprValuC+26], v16     // check NaN and +/-INF
v_med3_f32 v12, v[vgprValuC+26], v14, v15          // Clipping f32 value if exceeds the limit
v_cndmask_b32 v12, v12, v[vgprValuC+26], s[54:55]  // 
v_cmp_class_f32 s[54:55], v[vgprValuC+27], v16     // check NaN and +/-INF
v_med3_f32 v13, v[vgprValuC+27], v14, v15          // Clipping f32 value if exceeds the limit
v_cndmask_b32 v13, v13, v[vgprValuC+27], s[54:55]  // 
v_cvt_pk_fp8_f32  v24, v12, v13 op_sel:[0,0,1]     // convert two f32 accumulated values to fp8 and save it to hi_16[16:31]
_ds_store_b32 v7, v24, offset:8                    // storeRemap lw
v_cmp_class_f32 s[54:55], v[vgprValuC+28], v16     // check NaN and +/-INF
v_med3_f32 v12, v[vgprValuC+28], v14, v15          // Clipping f32 value if exceeds the limit
v_cndmask_b32 v12, v12, v[vgprValuC+28], s[54:55]  // 
v_cmp_class_f32 s[54:55], v[vgprValuC+29], v16     // check NaN and +/-INF
v_med3_f32 v13, v[vgprValuC+29], v14, v15          // Clipping f32 value if exceeds the limit
v_cndmask_b32 v13, v13, v[vgprValuC+29], s[54:55]  // 
v_cvt_pk_fp8_f32  v28, v12, v13 op_sel:[0,0,0]     // convert two f32 accumulated values to fp8 and save it to lo_16[0:15]
v_cmp_class_f32 s[54:55], v[vgprValuC+30], v16     // check NaN and +/-INF
v_med3_f32 v12, v[vgprValuC+30], v14, v15          // Clipping f32 value if exceeds the limit
v_cndmask_b32 v12, v12, v[vgprValuC+30], s[54:55]  // 
v_cmp_class_f32 s[54:55], v[vgprValuC+31], v16     // check NaN and +/-INF
v_med3_f32 v13, v[vgprValuC+31], v14, v15          // Clipping f32 value if exceeds the limit
v_cndmask_b32 v13, v13, v[vgprValuC+31], s[54:55]  // 
v_cvt_pk_fp8_f32  v28, v12, v13 op_sel:[0,0,1]     // convert two f32 accumulated values to fp8 and save it to hi_16[16:31]
_ds_store_b32 v7, v28, offset:16                   // storeRemap lw
v_cmp_class_f32 s[54:55], v[vgprValuC+32], v16     // check NaN and +/-INF
v_med3_f32 v12, v[vgprValuC+32], v14, v15          // Clipping f32 value if exceeds the limit
v_cndmask_b32 v12, v12, v[vgprValuC+32], s[54:55]  // 
v_cmp_class_f32 s[54:55], v[vgprValuC+33], v16     // check NaN and +/-INF
v_med3_f32 v13, v[vgprValuC+33], v14, v15          // Clipping f32 value if exceeds the limit
v_cndmask_b32 v13, v13, v[vgprValuC+33], s[54:55]  // 
v_cvt_pk_fp8_f32  v32, v12, v13 op_sel:[0,0,0]     // convert two f32 accumulated values to fp8 and save it to lo_16[0:15]
v_cmp_class_f32 s[54:55], v[vgprValuC+34], v16     // check NaN and +/-INF
v_med3_f32 v12, v[vgprValuC+34], v14, v15          // Clipping f32 value if exceeds the limit
v_cndmask_b32 v12, v12, v[vgprValuC+34], s[54:55]  // 
v_cmp_class_f32 s[54:55], v[vgprValuC+35], v16     // check NaN and +/-INF
v_med3_f32 v13, v[vgprValuC+35], v14, v15          // Clipping f32 value if exceeds the limit
v_cndmask_b32 v13, v13, v[vgprValuC+35], s[54:55]  // 
v_cvt_pk_fp8_f32  v32, v12, v13 op_sel:[0,0,1]     // convert two f32 accumulated values to fp8 and save it to hi_16[16:31]
_ds_store_b32 v7, v32, offset:24                   // storeRemap lw
v_cmp_class_f32 s[54:55], v[vgprValuC+36], v16     // check NaN and +/-INF
v_med3_f32 v12, v[vgprValuC+36], v14, v15          // Clipping f32 value if exceeds the limit
v_cndmask_b32 v12, v12, v[vgprValuC+36], s[54:55]  // 
v_cmp_class_f32 s[54:55], v[vgprValuC+37], v16     // check NaN and +/-INF
v_med3_f32 v13, v[vgprValuC+37], v14, v15          // Clipping f32 value if exceeds the limit
v_cndmask_b32 v13, v13, v[vgprValuC+37], s[54:55]  // 
v_cvt_pk_fp8_f32  v36, v12, v13 op_sel:[0,0,0]     // convert two f32 accumulated values to fp8 and save it to lo_16[0:15]
v_cmp_class_f32 s[54:55], v[vgprValuC+38], v16     // check NaN and +/-INF
v_med3_f32 v12, v[vgprValuC+38], v14, v15          // Clipping f32 value if exceeds the limit
v_cndmask_b32 v12, v12, v[vgprValuC+38], s[54:55]  // 
v_cmp_class_f32 s[54:55], v[vgprValuC+39], v16     // check NaN and +/-INF
v_med3_f32 v13, v[vgprValuC+39], v14, v15          // Clipping f32 value if exceeds the limit
v_cndmask_b32 v13, v13, v[vgprValuC+39], s[54:55]  // 
v_cvt_pk_fp8_f32  v36, v12, v13 op_sel:[0,0,1]     // convert two f32 accumulated values to fp8 and save it to hi_16[16:31]
_ds_store_b32 v7, v36, offset:128                  // storeRemap lw
v_cmp_class_f32 s[54:55], v[vgprValuC+40], v16     // check NaN and +/-INF
v_med3_f32 v12, v[vgprValuC+40], v14, v15          // Clipping f32 value if exceeds the limit
v_cndmask_b32 v12, v12, v[vgprValuC+40], s[54:55]  // 
v_cmp_class_f32 s[54:55], v[vgprValuC+41], v16     // check NaN and +/-INF
v_med3_f32 v13, v[vgprValuC+41], v14, v15          // Clipping f32 value if exceeds the limit
v_cndmask_b32 v13, v13, v[vgprValuC+41], s[54:55]  // 
v_cvt_pk_fp8_f32  v40, v12, v13 op_sel:[0,0,0]     // convert two f32 accumulated values to fp8 and save it to lo_16[0:15]
v_cmp_class_f32 s[54:55], v[vgprValuC+42], v16     // check NaN and +/-INF
v_med3_f32 v12, v[vgprValuC+42], v14, v15          // Clipping f32 value if exceeds the limit
v_cndmask_b32 v12, v12, v[vgprValuC+42], s[54:55]  // 
v_cmp_class_f32 s[54:55], v[vgprValuC+43], v16     // check NaN and +/-INF
v_med3_f32 v13, v[vgprValuC+43], v14, v15          // Clipping f32 value if exceeds the limit
v_cndmask_b32 v13, v13, v[vgprValuC+43], s[54:55]  // 
v_cvt_pk_fp8_f32  v40, v12, v13 op_sel:[0,0,1]     // convert two f32 accumulated values to fp8 and save it to hi_16[16:31]
_ds_store_b32 v7, v40, offset:136                  // storeRemap lw
	;; [unrolled: 15-line block ×4, first 2 shown]

/* Handle local read and global write */
s_waitcnt lgkmcnt(0)                               // wait for LDS write
s_barrier //wait all lds write finished

_ds_load_b128 v[20:23], v8, offset:0               // storeRemap lr
_ds_load_b128 v[24:27], v8, offset:1088            // storeRemap lr

v_mov_b32 v18, v6                                  // coord1
v_mul_lo_u32 v18, v18, s[sgprStrideD1J]            // coord1 offset =  coord1 * StrideD
_v_add_lshl_u32 v18, v18, v4, 0x0                  // global write D address
s_waitcnt lgkmcnt(1)                               // wait for LDS read
_buffer_store_b128 v[20:23], v18, s[sgprSrdD:sgprSrdD+3], 0, offen, offset:0 // store D
_v_add_u32 v18, v6, 4                              // coord1 += nColPerLoad
v_mul_lo_u32 v18, v18, s[sgprStrideD1J]            // coord1 offset =  coord1 * StrideD
_v_add_lshl_u32 v18, v18, v4, 0x0                  // global write D address
s_waitcnt lgkmcnt(0)                               // wait for LDS read
_buffer_store_b128 v[24:27], v18, s[sgprSrdD:sgprSrdD+3], 0, offen, offset:0 // store D

s_barrier //wait all lds read finished
s_nop 0                                            // 1 wait state required when next inst writes vgprs held by previous dwordx4 store inst
/* optSingleColVgpr=1 optSharedColVgpr=0 optSGPRUsage=BufferLoad_Mask optSrdIncForRow=1 */

/******************************************/
/* Global Write Batch #7 (d1,d0,vc1,vc0) = */
/*    (7,0,0,0:vw4); (7,1,0,0:vw4); (7,2,0,0:vw4); (7,3,0,0:vw4); (7,4,0,0:vw4); (7,5,0,0:vw4); (7,6,0,0:vw4); (7,7,0,0:vw4) */
/******************************************/

/* calc coords, apply mask, and issue loads (if necessary) */
/* (d1,vc1,d0,vc0)=(7,0,0,0) */
/* (d1,vc1,d0,vc0)=(7,0,1,0) */
	;; [unrolled: 1-line block ×8, first 2 shown]
v_accvgpr_read_b32 v[vgprValuC+20], acc224 // copy acc to vreg[224]
v_accvgpr_read_b32 v[vgprValuC+21], acc225 // copy acc to vreg[225]
v_accvgpr_read_b32 v[vgprValuC+22], acc226 // copy acc to vreg[226]
v_accvgpr_read_b32 v[vgprValuC+23], acc227 // copy acc to vreg[227]
v_accvgpr_read_b32 v[vgprValuC+24], acc228 // copy acc to vreg[228]
v_accvgpr_read_b32 v[vgprValuC+25], acc229 // copy acc to vreg[229]
v_accvgpr_read_b32 v[vgprValuC+26], acc230 // copy acc to vreg[230]
v_accvgpr_read_b32 v[vgprValuC+27], acc231 // copy acc to vreg[231]
v_accvgpr_read_b32 v[vgprValuC+28], acc232 // copy acc to vreg[232]
v_accvgpr_read_b32 v[vgprValuC+29], acc233 // copy acc to vreg[233]
v_accvgpr_read_b32 v[vgprValuC+30], acc234 // copy acc to vreg[234]
v_accvgpr_read_b32 v[vgprValuC+31], acc235 // copy acc to vreg[235]
v_accvgpr_read_b32 v[vgprValuC+32], acc236 // copy acc to vreg[236]
v_accvgpr_read_b32 v[vgprValuC+33], acc237 // copy acc to vreg[237]
v_accvgpr_read_b32 v[vgprValuC+34], acc238 // copy acc to vreg[238]
v_accvgpr_read_b32 v[vgprValuC+35], acc239 // copy acc to vreg[239]
v_accvgpr_read_b32 v[vgprValuC+36], acc240 // copy acc to vreg[240]
v_accvgpr_read_b32 v[vgprValuC+37], acc241 // copy acc to vreg[241]
v_accvgpr_read_b32 v[vgprValuC+38], acc242 // copy acc to vreg[242]
v_accvgpr_read_b32 v[vgprValuC+39], acc243 // copy acc to vreg[243]
v_accvgpr_read_b32 v[vgprValuC+40], acc244 // copy acc to vreg[244]
v_accvgpr_read_b32 v[vgprValuC+41], acc245 // copy acc to vreg[245]
v_accvgpr_read_b32 v[vgprValuC+42], acc246 // copy acc to vreg[246]
v_accvgpr_read_b32 v[vgprValuC+43], acc247 // copy acc to vreg[247]
v_accvgpr_read_b32 v[vgprValuC+44], acc248 // copy acc to vreg[248]
v_accvgpr_read_b32 v[vgprValuC+45], acc249 // copy acc to vreg[249]
v_accvgpr_read_b32 v[vgprValuC+46], acc250 // copy acc to vreg[250]
v_accvgpr_read_b32 v[vgprValuC+47], acc251 // copy acc to vreg[251]
v_accvgpr_read_b32 v[vgprValuC+48], acc252 // copy acc to vreg[252]
v_accvgpr_read_b32 v[vgprValuC+49], acc253 // copy acc to vreg[253]
v_accvgpr_read_b32 v[vgprValuC+50], acc254 // copy acc to vreg[254]
v_accvgpr_read_b32 v[vgprValuC+51], acc255 // copy acc to vreg[255]
s_nop 1                                            // 2 wait states required before reading vgpr

/* apply mask, calc new C and issue writes */
v_mov_b32 v16, 0x207                               // flag for Nan and +/- inf
v_mov_b32 v14, 0x43700000                          // save 240.0f as max for clipping
v_mov_b32 v15, 0xC3700000                          // save -240.0f as min for clipping

/* StoreRemap: shift coord1 address */
s_mul_i32 s54, s[sgprStrideD1J], 32                // scale StrideD *= numRows(32) * bpe
s_add_u32  s[sgprSrdD+0], s[sgprSrdD+0], s54       // incToNextRow: gra SRD += inc(lower)
s_addc_u32  s[sgprSrdD+1], s[sgprSrdD+1], 0        // incToNextRow: gra SRD += inc(upper)
v_mov_b32 v10, 32                                  // set shift rows
_v_add_u32 v5, v5, v10                             // shift storeRemap coord1
v_cmp_class_f32 s[54:55], v[vgprValuC+20], v16     // check NaN and +/-INF
v_med3_f32 v12, v[vgprValuC+20], v14, v15          // Clipping f32 value if exceeds the limit
v_cndmask_b32 v12, v12, v[vgprValuC+20], s[54:55]  // 
v_cmp_class_f32 s[54:55], v[vgprValuC+21], v16     // check NaN and +/-INF
v_med3_f32 v13, v[vgprValuC+21], v14, v15          // Clipping f32 value if exceeds the limit
v_cndmask_b32 v13, v13, v[vgprValuC+21], s[54:55]  // 
v_cvt_pk_fp8_f32  v20, v12, v13 op_sel:[0,0,0]     // convert two f32 accumulated values to fp8 and save it to lo_16[0:15]
v_cmp_class_f32 s[54:55], v[vgprValuC+22], v16     // check NaN and +/-INF
v_med3_f32 v12, v[vgprValuC+22], v14, v15          // Clipping f32 value if exceeds the limit
v_cndmask_b32 v12, v12, v[vgprValuC+22], s[54:55]  // 
v_cmp_class_f32 s[54:55], v[vgprValuC+23], v16     // check NaN and +/-INF
v_med3_f32 v13, v[vgprValuC+23], v14, v15          // Clipping f32 value if exceeds the limit
v_cndmask_b32 v13, v13, v[vgprValuC+23], s[54:55]  // 
v_cvt_pk_fp8_f32  v20, v12, v13 op_sel:[0,0,1]     // convert two f32 accumulated values to fp8 and save it to hi_16[16:31]
_ds_store_b32 v7, v20, offset:0                    // storeRemap lw
v_cmp_class_f32 s[54:55], v[vgprValuC+24], v16     // check NaN and +/-INF
v_med3_f32 v12, v[vgprValuC+24], v14, v15          // Clipping f32 value if exceeds the limit
v_cndmask_b32 v12, v12, v[vgprValuC+24], s[54:55]  // 
v_cmp_class_f32 s[54:55], v[vgprValuC+25], v16     // check NaN and +/-INF
v_med3_f32 v13, v[vgprValuC+25], v14, v15          // Clipping f32 value if exceeds the limit
v_cndmask_b32 v13, v13, v[vgprValuC+25], s[54:55]  // 
v_cvt_pk_fp8_f32  v24, v12, v13 op_sel:[0,0,0]     // convert two f32 accumulated values to fp8 and save it to lo_16[0:15]
v_cmp_class_f32 s[54:55], v[vgprValuC+26], v16     // check NaN and +/-INF
v_med3_f32 v12, v[vgprValuC+26], v14, v15          // Clipping f32 value if exceeds the limit
v_cndmask_b32 v12, v12, v[vgprValuC+26], s[54:55]  // 
v_cmp_class_f32 s[54:55], v[vgprValuC+27], v16     // check NaN and +/-INF
v_med3_f32 v13, v[vgprValuC+27], v14, v15          // Clipping f32 value if exceeds the limit
v_cndmask_b32 v13, v13, v[vgprValuC+27], s[54:55]  // 
v_cvt_pk_fp8_f32  v24, v12, v13 op_sel:[0,0,1]     // convert two f32 accumulated values to fp8 and save it to hi_16[16:31]
_ds_store_b32 v7, v24, offset:8                    // storeRemap lw
v_cmp_class_f32 s[54:55], v[vgprValuC+28], v16     // check NaN and +/-INF
v_med3_f32 v12, v[vgprValuC+28], v14, v15          // Clipping f32 value if exceeds the limit
v_cndmask_b32 v12, v12, v[vgprValuC+28], s[54:55]  // 
v_cmp_class_f32 s[54:55], v[vgprValuC+29], v16     // check NaN and +/-INF
v_med3_f32 v13, v[vgprValuC+29], v14, v15          // Clipping f32 value if exceeds the limit
v_cndmask_b32 v13, v13, v[vgprValuC+29], s[54:55]  // 
v_cvt_pk_fp8_f32  v28, v12, v13 op_sel:[0,0,0]     // convert two f32 accumulated values to fp8 and save it to lo_16[0:15]
v_cmp_class_f32 s[54:55], v[vgprValuC+30], v16     // check NaN and +/-INF
v_med3_f32 v12, v[vgprValuC+30], v14, v15          // Clipping f32 value if exceeds the limit
v_cndmask_b32 v12, v12, v[vgprValuC+30], s[54:55]  // 
v_cmp_class_f32 s[54:55], v[vgprValuC+31], v16     // check NaN and +/-INF
v_med3_f32 v13, v[vgprValuC+31], v14, v15          // Clipping f32 value if exceeds the limit
v_cndmask_b32 v13, v13, v[vgprValuC+31], s[54:55]  // 
v_cvt_pk_fp8_f32  v28, v12, v13 op_sel:[0,0,1]     // convert two f32 accumulated values to fp8 and save it to hi_16[16:31]
_ds_store_b32 v7, v28, offset:16                   // storeRemap lw
v_cmp_class_f32 s[54:55], v[vgprValuC+32], v16     // check NaN and +/-INF
v_med3_f32 v12, v[vgprValuC+32], v14, v15          // Clipping f32 value if exceeds the limit
v_cndmask_b32 v12, v12, v[vgprValuC+32], s[54:55]  // 
v_cmp_class_f32 s[54:55], v[vgprValuC+33], v16     // check NaN and +/-INF
v_med3_f32 v13, v[vgprValuC+33], v14, v15          // Clipping f32 value if exceeds the limit
v_cndmask_b32 v13, v13, v[vgprValuC+33], s[54:55]  // 
v_cvt_pk_fp8_f32  v32, v12, v13 op_sel:[0,0,0]     // convert two f32 accumulated values to fp8 and save it to lo_16[0:15]
v_cmp_class_f32 s[54:55], v[vgprValuC+34], v16     // check NaN and +/-INF
v_med3_f32 v12, v[vgprValuC+34], v14, v15          // Clipping f32 value if exceeds the limit
v_cndmask_b32 v12, v12, v[vgprValuC+34], s[54:55]  // 
v_cmp_class_f32 s[54:55], v[vgprValuC+35], v16     // check NaN and +/-INF
v_med3_f32 v13, v[vgprValuC+35], v14, v15          // Clipping f32 value if exceeds the limit
v_cndmask_b32 v13, v13, v[vgprValuC+35], s[54:55]  // 
v_cvt_pk_fp8_f32  v32, v12, v13 op_sel:[0,0,1]     // convert two f32 accumulated values to fp8 and save it to hi_16[16:31]
_ds_store_b32 v7, v32, offset:24                   // storeRemap lw
v_cmp_class_f32 s[54:55], v[vgprValuC+36], v16     // check NaN and +/-INF
v_med3_f32 v12, v[vgprValuC+36], v14, v15          // Clipping f32 value if exceeds the limit
v_cndmask_b32 v12, v12, v[vgprValuC+36], s[54:55]  // 
v_cmp_class_f32 s[54:55], v[vgprValuC+37], v16     // check NaN and +/-INF
v_med3_f32 v13, v[vgprValuC+37], v14, v15          // Clipping f32 value if exceeds the limit
v_cndmask_b32 v13, v13, v[vgprValuC+37], s[54:55]  // 
v_cvt_pk_fp8_f32  v36, v12, v13 op_sel:[0,0,0]     // convert two f32 accumulated values to fp8 and save it to lo_16[0:15]
v_cmp_class_f32 s[54:55], v[vgprValuC+38], v16     // check NaN and +/-INF
v_med3_f32 v12, v[vgprValuC+38], v14, v15          // Clipping f32 value if exceeds the limit
v_cndmask_b32 v12, v12, v[vgprValuC+38], s[54:55]  // 
v_cmp_class_f32 s[54:55], v[vgprValuC+39], v16     // check NaN and +/-INF
v_med3_f32 v13, v[vgprValuC+39], v14, v15          // Clipping f32 value if exceeds the limit
v_cndmask_b32 v13, v13, v[vgprValuC+39], s[54:55]  // 
v_cvt_pk_fp8_f32  v36, v12, v13 op_sel:[0,0,1]     // convert two f32 accumulated values to fp8 and save it to hi_16[16:31]
_ds_store_b32 v7, v36, offset:128                  // storeRemap lw
v_cmp_class_f32 s[54:55], v[vgprValuC+40], v16     // check NaN and +/-INF
v_med3_f32 v12, v[vgprValuC+40], v14, v15          // Clipping f32 value if exceeds the limit
v_cndmask_b32 v12, v12, v[vgprValuC+40], s[54:55]  // 
v_cmp_class_f32 s[54:55], v[vgprValuC+41], v16     // check NaN and +/-INF
v_med3_f32 v13, v[vgprValuC+41], v14, v15          // Clipping f32 value if exceeds the limit
v_cndmask_b32 v13, v13, v[vgprValuC+41], s[54:55]  // 
v_cvt_pk_fp8_f32  v40, v12, v13 op_sel:[0,0,0]     // convert two f32 accumulated values to fp8 and save it to lo_16[0:15]
v_cmp_class_f32 s[54:55], v[vgprValuC+42], v16     // check NaN and +/-INF
v_med3_f32 v12, v[vgprValuC+42], v14, v15          // Clipping f32 value if exceeds the limit
v_cndmask_b32 v12, v12, v[vgprValuC+42], s[54:55]  // 
v_cmp_class_f32 s[54:55], v[vgprValuC+43], v16     // check NaN and +/-INF
v_med3_f32 v13, v[vgprValuC+43], v14, v15          // Clipping f32 value if exceeds the limit
v_cndmask_b32 v13, v13, v[vgprValuC+43], s[54:55]  // 
v_cvt_pk_fp8_f32  v40, v12, v13 op_sel:[0,0,1]     // convert two f32 accumulated values to fp8 and save it to hi_16[16:31]
_ds_store_b32 v7, v40, offset:136                  // storeRemap lw
	;; [unrolled: 15-line block ×4, first 2 shown]

/* Handle local read and global write */
s_waitcnt lgkmcnt(0)                               // wait for LDS write
s_barrier //wait all lds write finished

_ds_load_b128 v[20:23], v8, offset:0               // storeRemap lr
_ds_load_b128 v[24:27], v8, offset:1088            // storeRemap lr

v_mov_b32 v18, v6                                  // coord1
v_mul_lo_u32 v18, v18, s[sgprStrideD1J]            // coord1 offset =  coord1 * StrideD
_v_add_lshl_u32 v18, v18, v4, 0x0                  // global write D address
s_waitcnt lgkmcnt(1)                               // wait for LDS read
_buffer_store_b128 v[20:23], v18, s[sgprSrdD:sgprSrdD+3], 0, offen, offset:0 // store D
_v_add_u32 v18, v6, 4                              // coord1 += nColPerLoad
v_mul_lo_u32 v18, v18, s[sgprStrideD1J]            // coord1 offset =  coord1 * StrideD
_v_add_lshl_u32 v18, v18, v4, 0x0                  // global write D address
s_waitcnt lgkmcnt(0)                               // wait for LDS read
_buffer_store_b128 v[24:27], v18, s[sgprSrdD:sgprSrdD+3], 0, offen, offset:0 // store D

s_barrier //wait all lds read finished
s_nop 0                                            // 1 wait state required when next inst writes vgprs held by previous dwordx4 store inst
s_branch label_GW_End_23                           // jump to end
label_GW_End_23:

s_endpgm                                           // Kernel End
OptNLL_End_17:


/******************************************/
/* Ord. NoLoadLoop - Begin                                      */
/******************************************/


	;; [unrolled: 1-line block ×4, first 2 shown]
/* iter 0 (last unrolled loop) */

/*  grEndMfmaIndex:0, lwStartMfmaIndex:47, lwEndMfmaIndex:47  */
/*  numMfmaForLR:15, barrierMfmaIndex:48, LocalWritePerMfma:0.730 */
/*  mfmaIndex:0  */
s_waitcnt lgkmcnt(0)                               // lgkmcnt=0 vmcnt=-1wait for prior local read local write old=0, new=0 newLW=0 newLR=0
/* pack scheduling: packAIdx:6, packBIdx:0 */
_v_lshl_or_b32 v[vgprValuA_X0_I0+0], v125, 0x8, v[vgprValuA_X0_I0+0] // pack two int8 Vgpr to one half Vgpr
_v_lshl_or_b32 v126, v127, 0x8, v126               // pack two int8 Vgpr to one half Vgpr
v_or_b32 v[vgprValuA_X0_I0+0], v[vgprValuA_X0_I0+0], v126 // pack two half Vgpr to one Vgpr
_v_lshl_or_b32 v[vgprValuA_X0_I0+1], v128, 0x8, v[vgprValuA_X0_I0+1] // pack two int8 Vgpr to one half Vgpr
_v_lshl_or_b32 v129, v130, 0x8, v129               // pack two int8 Vgpr to one half Vgpr
v_or_b32 v[vgprValuA_X0_I0+1], v[vgprValuA_X0_I0+1], v129 // pack two half Vgpr to one Vgpr
	;; [unrolled: 3-line block ×4, first 2 shown]
v_mfma_f32_32x32x16_fp8_fp8 a[0+0:15+0], v[vgprValuA_X0_I0+0+0+0:vgprValuA_X0_I0+0+0+0+1], v[vgprValuB_X0_I0+0+0+0:vgprValuB_X0_I0+0+0+0+1], a[0:15]
/*  mfmaIndex:1  */
_ds_load_u8 v[vgprValuA_X1_I0+0], v[vgprLocalReadAddrA] offset:2048 // L -> Reg lro=2048 swapByteOffset=0 ti=128 vIdx=0 rIdx=0 oIdx=0 buffer=1 iui=0
_ds_load_u8 v137, v[vgprLocalReadAddrA] offset:2304 // L -> Reg lro=2048 swapByteOffset=0 ti=128 vIdx=0 rIdx=1 oIdx=0 buffer=1 iui=0
_ds_load_u8_d16_hi v138, v[vgprLocalReadAddrA] offset:2560 // L -> Reg lro=2048 swapByteOffset=0 ti=128 vIdx=0 rIdx=2 oIdx=0 buffer=1 iui=0
v_mfma_f32_32x32x16_fp8_fp8 a[16+0:31+0], v[vgprValuA_X0_I0+2+0+0:vgprValuA_X0_I0+2+0+0+1], v[vgprValuB_X0_I0+0+0+0:vgprValuB_X0_I0+0+0+0+1], a[16:31]
/*  mfmaIndex:2  */
_ds_load_u8_d16_hi v139, v[vgprLocalReadAddrA] offset:2816 // L -> Reg lro=2048 swapByteOffset=0 ti=128 vIdx=0 rIdx=3 oIdx=0 buffer=1 iui=0
_ds_load_u8 v[vgprValuA_X1_I0+1], v[vgprLocalReadAddrA] offset:3072 // L -> Reg lro=2048 swapByteOffset=0 ti=128 vIdx=0 rIdx=4 oIdx=0 buffer=1 iui=0
_ds_load_u8 v140, v[vgprLocalReadAddrA] offset:3328 // L -> Reg lro=2048 swapByteOffset=0 ti=128 vIdx=0 rIdx=5 oIdx=0 buffer=1 iui=0
v_mfma_f32_32x32x16_fp8_fp8 a[48+0:63+0], v[vgprValuA_X0_I0+2+0+0:vgprValuA_X0_I0+2+0+0+1], v[vgprValuB_X0_I0+4+0+0:vgprValuB_X0_I0+4+0+0+1], a[48:63]
/*  mfmaIndex:3  */
_ds_load_u8_d16_hi v141, v[vgprLocalReadAddrA] offset:3584 // L -> Reg lro=2048 swapByteOffset=0 ti=128 vIdx=0 rIdx=6 oIdx=0 buffer=1 iui=0
_ds_load_u8_d16_hi v142, v[vgprLocalReadAddrA] offset:3840 // L -> Reg lro=2048 swapByteOffset=0 ti=128 vIdx=0 rIdx=7 oIdx=0 buffer=1 iui=0
v_mfma_f32_32x32x16_fp8_fp8 a[32+0:47+0], v[vgprValuA_X0_I0+0+0+0:vgprValuA_X0_I0+0+0+0+1], v[vgprValuB_X0_I0+4+0+0:vgprValuB_X0_I0+4+0+0+1], a[32:47]
/*  mfmaIndex:4  */
_ds_load_b128 v[vgprValuB_X2_I0+0:vgprValuB_X2_I0+0+3], v[vgprLocalReadAddrB] offset:32 // L -> Reg lro=32 swapByteOffset=0 ti=32 vIdx=0 rIdx=0 oIdx=0 buffer=2 iui=0
_ds_load_u8 v[vgprValuA_X1_I0+2], v[vgprLocalReadAddrA] offset:2176 // L -> Reg lro=2048 swapByteOffset=0 ti=128 vIdx=1 rIdx=0 oIdx=0 buffer=1 iui=0
v_mfma_f32_32x32x16_fp8_fp8 a[64+0:79+0], v[vgprValuA_X0_I0+0+0+0:vgprValuA_X0_I0+0+0+0+1], v[vgprValuB_X0_I0+8+0+0:vgprValuB_X0_I0+8+0+0+1], a[64:79]
/*  mfmaIndex:5  */
_ds_load_u8 v143, v[vgprLocalReadAddrA] offset:2432 // L -> Reg lro=2048 swapByteOffset=0 ti=128 vIdx=1 rIdx=1 oIdx=0 buffer=1 iui=0
_ds_load_u8_d16_hi v144, v[vgprLocalReadAddrA] offset:2688 // L -> Reg lro=2048 swapByteOffset=0 ti=128 vIdx=1 rIdx=2 oIdx=0 buffer=1 iui=0
_ds_load_u8_d16_hi v145, v[vgprLocalReadAddrA] offset:2944 // L -> Reg lro=2048 swapByteOffset=0 ti=128 vIdx=1 rIdx=3 oIdx=0 buffer=1 iui=0
v_mfma_f32_32x32x16_fp8_fp8 a[80+0:95+0], v[vgprValuA_X0_I0+2+0+0:vgprValuA_X0_I0+2+0+0+1], v[vgprValuB_X0_I0+8+0+0:vgprValuB_X0_I0+8+0+0+1], a[80:95]
/*  mfmaIndex:6  */
_ds_load_u8 v[vgprValuA_X1_I0+3], v[vgprLocalReadAddrA] offset:3200 // L -> Reg lro=2048 swapByteOffset=0 ti=128 vIdx=1 rIdx=4 oIdx=0 buffer=1 iui=0
_ds_load_u8 v146, v[vgprLocalReadAddrA] offset:3456 // L -> Reg lro=2048 swapByteOffset=0 ti=128 vIdx=1 rIdx=5 oIdx=0 buffer=1 iui=0
_ds_load_u8_d16_hi v147, v[vgprLocalReadAddrA] offset:3712 // L -> Reg lro=2048 swapByteOffset=0 ti=128 vIdx=1 rIdx=6 oIdx=0 buffer=1 iui=0
v_mfma_f32_32x32x16_fp8_fp8 a[112+0:127+0], v[vgprValuA_X0_I0+2+0+0:vgprValuA_X0_I0+2+0+0+1], v[vgprValuB_X0_I0+12+0+0:vgprValuB_X0_I0+12+0+0+1], a[112:127]
/*  mfmaIndex:7  */
_ds_load_u8_d16_hi v148, v[vgprLocalReadAddrA] offset:3968 // L -> Reg lro=2048 swapByteOffset=0 ti=128 vIdx=1 rIdx=7 oIdx=0 buffer=1 iui=0
_ds_load_b128 v[vgprValuB_X2_I0+4:vgprValuB_X2_I0+4+3], v[vgprLocalReadAddrB] offset:2336 // L -> Reg lro=32 swapByteOffset=0 ti=32 vIdx=1 rIdx=0 oIdx=0 buffer=2 iui=0
v_mfma_f32_32x32x16_fp8_fp8 a[96+0:111+0], v[vgprValuA_X0_I0+0+0+0:vgprValuA_X0_I0+0+0+0+1], v[vgprValuB_X0_I0+12+0+0:vgprValuB_X0_I0+12+0+0+1], a[96:111]
/*  mfmaIndex:8  */
_ds_load_b128 v[vgprValuB_X2_I0+8:vgprValuB_X2_I0+8+3], v[vgprLocalReadAddrB] offset:4640 // L -> Reg lro=32 swapByteOffset=0 ti=32 vIdx=2 rIdx=0 oIdx=0 buffer=2 iui=0
_ds_load_b128 v[vgprValuB_X2_I0+12:vgprValuB_X2_I0+12+3], v[vgprLocalReadAddrB] offset:6944 // L -> Reg lro=32 swapByteOffset=0 ti=32 vIdx=3 rIdx=0 oIdx=0 buffer=2 iui=0
v_mfma_f32_32x32x16_fp8_fp8 a[128+0:143+0], v[vgprValuA_X0_I0+0+0+0:vgprValuA_X0_I0+0+0+0+1], v[vgprValuB_X0_I0+16+0+0:vgprValuB_X0_I0+16+0+0+1], a[128:143]
/*  mfmaIndex:9  */
_ds_load_b128 v[vgprValuB_X2_I0+16:vgprValuB_X2_I0+16+3], v[vgprLocalReadAddrB] offset:9248 // L -> Reg lro=32 swapByteOffset=0 ti=32 vIdx=4 rIdx=0 oIdx=0 buffer=2 iui=0
	;; [unrolled: 4-line block ×3, first 2 shown]
v_mfma_f32_32x32x16_fp8_fp8 a[176+0:191+0], v[vgprValuA_X0_I0+2+0+0:vgprValuA_X0_I0+2+0+0+1], v[vgprValuB_X0_I0+20+0+0:vgprValuB_X0_I0+20+0+0+1], a[176:191]
/*  mfmaIndex:11  */
_ds_load_b128 v[vgprValuB_X2_I0+28:vgprValuB_X2_I0+28+3], v[vgprLocalReadAddrB] offset:16160 // L -> Reg lro=32 swapByteOffset=0 ti=32 vIdx=7 rIdx=0 oIdx=0 buffer=2 iui=0
/* localReadsVacancy: latencyLeft 2 */
_ds_load_u8 v[vgprValuA_X2_I0+0], v[vgprLocalReadAddrA] offset:8192 // L -> Reg lro=8192 swapByteOffset=0 ti=128 vIdx=0 rIdx=0 oIdx=0 buffer=2 iui=0
v_mfma_f32_32x32x16_fp8_fp8 a[160+0:175+0], v[vgprValuA_X0_I0+0+0+0:vgprValuA_X0_I0+0+0+0+1], v[vgprValuB_X0_I0+20+0+0:vgprValuB_X0_I0+20+0+0+1], a[160:175]
/*  mfmaIndex:12  */
/* localReadsVacancy: latencyLeft 6 */
_ds_load_u8 v[vgprValuA_X2_I0+1], v[vgprLocalReadAddrA] offset:9216 // L -> Reg lro=8192 swapByteOffset=0 ti=128 vIdx=0 rIdx=4 oIdx=0 buffer=2 iui=0
_ds_load_u8 v[vgprValuA_X2_I0+2], v[vgprLocalReadAddrA] offset:8320 // L -> Reg lro=8192 swapByteOffset=0 ti=128 vIdx=1 rIdx=0 oIdx=0 buffer=2 iui=0
	;; [unrolled: 1-line block ×3, first 2 shown]
v_mfma_f32_32x32x16_fp8_fp8 a[192+0:207+0], v[vgprValuA_X0_I0+0+0+0:vgprValuA_X0_I0+0+0+0+1], v[vgprValuB_X0_I0+24+0+0:vgprValuB_X0_I0+24+0+0+1], a[192:207]
/*  mfmaIndex:13  */
/* localReadsVacancy: latencyLeft 6 */
_ds_load_u8 v[vgprValuA_X3_I0+0], v[vgprLocalReadAddrA] offset:10240 // L -> Reg lro=10240 swapByteOffset=0 ti=128 vIdx=0 rIdx=0 oIdx=0 buffer=3 iui=0
_ds_load_u8 v[vgprValuA_X3_I0+1], v[vgprLocalReadAddrA] offset:11264 // L -> Reg lro=10240 swapByteOffset=0 ti=128 vIdx=0 rIdx=4 oIdx=0 buffer=3 iui=0
	;; [unrolled: 1-line block ×3, first 2 shown]
v_mfma_f32_32x32x16_fp8_fp8 a[208+0:223+0], v[vgprValuA_X0_I0+2+0+0:vgprValuA_X0_I0+2+0+0+1], v[vgprValuB_X0_I0+24+0+0:vgprValuB_X0_I0+24+0+0+1], a[208:223]
/*  mfmaIndex:14  */
/* localReadsVacancy: latencyLeft 6 */
_ds_load_u8 v[vgprValuA_X3_I0+3], v[vgprLocalReadAddrA] offset:11392 // L -> Reg lro=10240 swapByteOffset=0 ti=128 vIdx=1 rIdx=4 oIdx=0 buffer=3 iui=0
v_mfma_f32_32x32x16_fp8_fp8 a[240+0:255+0], v[vgprValuA_X0_I0+2+0+0:vgprValuA_X0_I0+2+0+0+1], v[vgprValuB_X0_I0+28+0+0:vgprValuB_X0_I0+28+0+0+1], a[240:255]
/*  mfmaIndex:15  */
/* localReadsVacancy: latencyLeft 6 */
v_mfma_f32_32x32x16_fp8_fp8 a[224+0:239+0], v[vgprValuA_X0_I0+0+0+0:vgprValuA_X0_I0+0+0+0+1], v[vgprValuB_X0_I0+28+0+0:vgprValuB_X0_I0+28+0+0+1], a[224:239]
/* numPrefetchIter=0 */
/* dataAtIterA=-1 numReadsIterA=1 skipReadsIterA=1 readsPerIterA=16 */
/* dataAtIterB=-1 numReadsIterB=1 skipReadsIterB=1 readsPerIterB=8 */


/* iter 1 (last unrolled loop) */

/*  grEndMfmaIndex:0, lwStartMfmaIndex:47, lwEndMfmaIndex:47  */
/*  numMfmaForLR:15, barrierMfmaIndex:48, LocalWritePerMfma:0.730 */
/*  mfmaIndex:16  */
_ds_load_u8 v125, v[vgprLocalReadAddrA] offset:8448 // L -> Reg lro=8192 swapByteOffset=0 ti=128 vIdx=0 rIdx=1 oIdx=0 buffer=2 iui=0
_ds_load_u8_d16_hi v126, v[vgprLocalReadAddrA] offset:8704 // L -> Reg lro=8192 swapByteOffset=0 ti=128 vIdx=0 rIdx=2 oIdx=0 buffer=2 iui=0
_ds_load_u8_d16_hi v127, v[vgprLocalReadAddrA] offset:8960 // L -> Reg lro=8192 swapByteOffset=0 ti=128 vIdx=0 rIdx=3 oIdx=0 buffer=2 iui=0
s_waitcnt lgkmcnt(11)                              // lgkmcnt=0 vmcnt=-1wait for prior local read local write old=4, new=7 newLW=0 newLR=3
/* pack scheduling: packAIdx:6, packBIdx:0 */
_v_lshl_or_b32 v[vgprValuA_X1_I0+0], v137, 0x8, v[vgprValuA_X1_I0+0] // pack two int8 Vgpr to one half Vgpr
_v_lshl_or_b32 v138, v139, 0x8, v138               // pack two int8 Vgpr to one half Vgpr
v_or_b32 v[vgprValuA_X1_I0+0], v[vgprValuA_X1_I0+0], v138 // pack two half Vgpr to one Vgpr
_v_lshl_or_b32 v[vgprValuA_X1_I0+1], v140, 0x8, v[vgprValuA_X1_I0+1] // pack two int8 Vgpr to one half Vgpr
_v_lshl_or_b32 v141, v142, 0x8, v141               // pack two int8 Vgpr to one half Vgpr
v_or_b32 v[vgprValuA_X1_I0+1], v[vgprValuA_X1_I0+1], v141 // pack two half Vgpr to one Vgpr
	;; [unrolled: 3-line block ×4, first 2 shown]
v_mfma_f32_32x32x16_fp8_fp8 a[0+0:15+0], v[vgprValuA_X1_I0+0+0+0:vgprValuA_X1_I0+0+0+0+1], v[vgprValuB_X0_I0+0+2+0:vgprValuB_X0_I0+0+2+0+1], a[0:15]
/*  mfmaIndex:17  */
_ds_load_u8 v128, v[vgprLocalReadAddrA] offset:9472 // L -> Reg lro=8192 swapByteOffset=0 ti=128 vIdx=0 rIdx=5 oIdx=0 buffer=2 iui=0
_ds_load_u8_d16_hi v129, v[vgprLocalReadAddrA] offset:9728 // L -> Reg lro=8192 swapByteOffset=0 ti=128 vIdx=0 rIdx=6 oIdx=0 buffer=2 iui=0
_ds_load_u8_d16_hi v130, v[vgprLocalReadAddrA] offset:9984 // L -> Reg lro=8192 swapByteOffset=0 ti=128 vIdx=0 rIdx=7 oIdx=0 buffer=2 iui=0
v_mfma_f32_32x32x16_fp8_fp8 a[16+0:31+0], v[vgprValuA_X1_I0+2+0+0:vgprValuA_X1_I0+2+0+0+1], v[vgprValuB_X0_I0+0+2+0:vgprValuB_X0_I0+0+2+0+1], a[16:31]
/*  mfmaIndex:18  */
_ds_load_u8 v131, v[vgprLocalReadAddrA] offset:8576 // L -> Reg lro=8192 swapByteOffset=0 ti=128 vIdx=1 rIdx=1 oIdx=0 buffer=2 iui=0
_ds_load_u8_d16_hi v132, v[vgprLocalReadAddrA] offset:8832 // L -> Reg lro=8192 swapByteOffset=0 ti=128 vIdx=1 rIdx=2 oIdx=0 buffer=2 iui=0
_ds_load_u8_d16_hi v133, v[vgprLocalReadAddrA] offset:9088 // L -> Reg lro=8192 swapByteOffset=0 ti=128 vIdx=1 rIdx=3 oIdx=0 buffer=2 iui=0
	;; [unrolled: 5-line block ×3, first 2 shown]
v_mfma_f32_32x32x16_fp8_fp8 a[32+0:47+0], v[vgprValuA_X1_I0+0+0+0:vgprValuA_X1_I0+0+0+0+1], v[vgprValuB_X0_I0+4+2+0:vgprValuB_X0_I0+4+2+0+1], a[32:47]
/*  mfmaIndex:20  */
/* localReadsVacancy: latencyLeft 6 */
v_mfma_f32_32x32x16_fp8_fp8 a[64+0:79+0], v[vgprValuA_X1_I0+0+0+0:vgprValuA_X1_I0+0+0+0+1], v[vgprValuB_X0_I0+8+2+0:vgprValuB_X0_I0+8+2+0+1], a[64:79]
/*  mfmaIndex:21  */
/* localReadsVacancy: latencyLeft 6 */
	;; [unrolled: 3-line block ×12, first 2 shown]
v_mfma_f32_32x32x16_fp8_fp8 a[224+0:239+0], v[vgprValuA_X1_I0+0+0+0:vgprValuA_X1_I0+0+0+0+1], v[vgprValuB_X0_I0+28+2+0:vgprValuB_X0_I0+28+2+0+1], a[224:239]
/* numPrefetchIter=0 */
/* dataAtIterA=0 numReadsIterA=2 skipReadsIterA=1 readsPerIterA=16 */
/* dataAtIterB=-1 numReadsIterB=1 skipReadsIterB=0 readsPerIterB=8 */


/* iter 2 (last unrolled loop) */

/*  grEndMfmaIndex:0, lwStartMfmaIndex:47, lwEndMfmaIndex:47  */
/*  numMfmaForLR:15, barrierMfmaIndex:48, LocalWritePerMfma:0.730 */
/*  mfmaIndex:32  */
_ds_load_u8 v137, v[vgprLocalReadAddrA] offset:10496 // L -> Reg lro=10240 swapByteOffset=0 ti=128 vIdx=0 rIdx=1 oIdx=0 buffer=3 iui=0
_ds_load_u8_d16_hi v138, v[vgprLocalReadAddrA] offset:10752 // L -> Reg lro=10240 swapByteOffset=0 ti=128 vIdx=0 rIdx=2 oIdx=0 buffer=3 iui=0
_ds_load_u8_d16_hi v139, v[vgprLocalReadAddrA] offset:11008 // L -> Reg lro=10240 swapByteOffset=0 ti=128 vIdx=0 rIdx=3 oIdx=0 buffer=3 iui=0
s_waitcnt lgkmcnt(3)                               // lgkmcnt=0 vmcnt=-1wait for prior local read local write old=0, new=3 newLW=0 newLR=3
/* pack scheduling: packAIdx:6, packBIdx:0 */
_v_lshl_or_b32 v[vgprValuA_X2_I0+0], v125, 0x8, v[vgprValuA_X2_I0+0] // pack two int8 Vgpr to one half Vgpr
_v_lshl_or_b32 v126, v127, 0x8, v126               // pack two int8 Vgpr to one half Vgpr
v_or_b32 v[vgprValuA_X2_I0+0], v[vgprValuA_X2_I0+0], v126 // pack two half Vgpr to one Vgpr
_v_lshl_or_b32 v[vgprValuA_X2_I0+1], v128, 0x8, v[vgprValuA_X2_I0+1] // pack two int8 Vgpr to one half Vgpr
_v_lshl_or_b32 v129, v130, 0x8, v129               // pack two int8 Vgpr to one half Vgpr
v_or_b32 v[vgprValuA_X2_I0+1], v[vgprValuA_X2_I0+1], v129 // pack two half Vgpr to one Vgpr
	;; [unrolled: 3-line block ×4, first 2 shown]
v_mfma_f32_32x32x16_fp8_fp8 a[0+0:15+0], v[vgprValuA_X2_I0+0+0+0:vgprValuA_X2_I0+0+0+0+1], v[vgprValuB_X2_I0+0+0+0:vgprValuB_X2_I0+0+0+0+1], a[0:15]
/*  mfmaIndex:33  */
_ds_load_u8 v140, v[vgprLocalReadAddrA] offset:11520 // L -> Reg lro=10240 swapByteOffset=0 ti=128 vIdx=0 rIdx=5 oIdx=0 buffer=3 iui=0
_ds_load_u8_d16_hi v141, v[vgprLocalReadAddrA] offset:11776 // L -> Reg lro=10240 swapByteOffset=0 ti=128 vIdx=0 rIdx=6 oIdx=0 buffer=3 iui=0
_ds_load_u8_d16_hi v142, v[vgprLocalReadAddrA] offset:12032 // L -> Reg lro=10240 swapByteOffset=0 ti=128 vIdx=0 rIdx=7 oIdx=0 buffer=3 iui=0
v_mfma_f32_32x32x16_fp8_fp8 a[16+0:31+0], v[vgprValuA_X2_I0+2+0+0:vgprValuA_X2_I0+2+0+0+1], v[vgprValuB_X2_I0+0+0+0:vgprValuB_X2_I0+0+0+0+1], a[16:31]
/*  mfmaIndex:34  */
_ds_load_u8 v143, v[vgprLocalReadAddrA] offset:10624 // L -> Reg lro=10240 swapByteOffset=0 ti=128 vIdx=1 rIdx=1 oIdx=0 buffer=3 iui=0
_ds_load_u8_d16_hi v144, v[vgprLocalReadAddrA] offset:10880 // L -> Reg lro=10240 swapByteOffset=0 ti=128 vIdx=1 rIdx=2 oIdx=0 buffer=3 iui=0
_ds_load_u8_d16_hi v145, v[vgprLocalReadAddrA] offset:11136 // L -> Reg lro=10240 swapByteOffset=0 ti=128 vIdx=1 rIdx=3 oIdx=0 buffer=3 iui=0
	;; [unrolled: 5-line block ×3, first 2 shown]
v_mfma_f32_32x32x16_fp8_fp8 a[32+0:47+0], v[vgprValuA_X2_I0+0+0+0:vgprValuA_X2_I0+0+0+0+1], v[vgprValuB_X2_I0+4+0+0:vgprValuB_X2_I0+4+0+0+1], a[32:47]
/*  mfmaIndex:36  */
/* localReadsVacancy: latencyLeft 6 */
v_mfma_f32_32x32x16_fp8_fp8 a[64+0:79+0], v[vgprValuA_X2_I0+0+0+0:vgprValuA_X2_I0+0+0+0+1], v[vgprValuB_X2_I0+8+0+0:vgprValuB_X2_I0+8+0+0+1], a[64:79]
/*  mfmaIndex:37  */
/* localReadsVacancy: latencyLeft 6 */
	;; [unrolled: 3-line block ×11, first 2 shown]
/* 1 LDS buffer: read-sync-write */
s_waitcnt lgkmcnt(0)                               // 
s_barrier                                          // 
v_mfma_f32_32x32x16_fp8_fp8 a[240+0:255+0], v[vgprValuA_X2_I0+2+0+0:vgprValuA_X2_I0+2+0+0+1], v[vgprValuB_X2_I0+28+0+0:vgprValuB_X2_I0+28+0+0+1], a[240:255]
/*  mfmaIndex:47  */
/* localReadsVacancy: latencyLeft 6 */
v_mfma_f32_32x32x16_fp8_fp8 a[224+0:239+0], v[vgprValuA_X2_I0+0+0+0:vgprValuA_X2_I0+0+0+0+1], v[vgprValuB_X2_I0+28+0+0:vgprValuB_X2_I0+28+0+0+1], a[224:239]
/* numPrefetchIter=0 */
/* dataAtIterA=1 numReadsIterA=3 skipReadsIterA=1 readsPerIterA=16 */
/* dataAtIterB=0 numReadsIterB=1 skipReadsIterB=0 readsPerIterB=8 */


/* iter 3 (last unrolled loop) */

/*  grEndMfmaIndex:0, lwStartMfmaIndex:47, lwEndMfmaIndex:47  */
/*  numMfmaForLR:15, barrierMfmaIndex:48, LocalWritePerMfma:0.730 */
/*  mfmaIndex:48  */
/* pack scheduling: packAIdx:6, packBIdx:0 */
_v_lshl_or_b32 v[vgprValuA_X3_I0+0], v137, 0x8, v[vgprValuA_X3_I0+0] // pack two int8 Vgpr to one half Vgpr
_v_lshl_or_b32 v138, v139, 0x8, v138               // pack two int8 Vgpr to one half Vgpr
v_or_b32 v[vgprValuA_X3_I0+0], v[vgprValuA_X3_I0+0], v138 // pack two half Vgpr to one Vgpr
_v_lshl_or_b32 v[vgprValuA_X3_I0+1], v140, 0x8, v[vgprValuA_X3_I0+1] // pack two int8 Vgpr to one half Vgpr
_v_lshl_or_b32 v141, v142, 0x8, v141               // pack two int8 Vgpr to one half Vgpr
v_or_b32 v[vgprValuA_X3_I0+1], v[vgprValuA_X3_I0+1], v141 // pack two half Vgpr to one Vgpr
	;; [unrolled: 3-line block ×4, first 2 shown]
v_mfma_f32_32x32x16_fp8_fp8 a[0+0:15+0], v[vgprValuA_X3_I0+0+0+0:vgprValuA_X3_I0+0+0+0+1], v[vgprValuB_X2_I0+0+2+0:vgprValuB_X2_I0+0+2+0+1], a[0:15]
/*  mfmaIndex:49  */
v_mfma_f32_32x32x16_fp8_fp8 a[16+0:31+0], v[vgprValuA_X3_I0+2+0+0:vgprValuA_X3_I0+2+0+0+1], v[vgprValuB_X2_I0+0+2+0:vgprValuB_X2_I0+0+2+0+1], a[16:31]
/*  mfmaIndex:50  */
	;; [unrolled: 2-line block ×15, first 2 shown]
v_mfma_f32_32x32x16_fp8_fp8 a[224+0:239+0], v[vgprValuA_X3_I0+0+0+0:vgprValuA_X3_I0+0+0+0+1], v[vgprValuB_X2_I0+28+2+0:vgprValuB_X2_I0+28+2+0+1], a[224:239]

PrefetchGlobalLastIterEnd_5:


/******************************************/
/* Tail Loop                              */
/******************************************/


/* local write reset offsets a */


	;; [unrolled: 1-line block ×4, first 2 shown]
/* local write reset offsets b */


	;; [unrolled: 1-line block ×4, first 2 shown]
//numIterL = (((sizeL % LOCAL_DEPTHU) + LOCAL_SPLITU - 1) / LOCAL_SPLITU)
s_and_b32 s[sgprLoopCounterL], 63, s[sgprSizesSum+0] // s[sgprLoopCounterL] = s[sgprSizesSum+0] % 64
s_cmp_eq_u32 s[sgprLoopCounterL], 0x0              // numIterL == 0
s_cbranch_scc1 SkipTailLoopL_8                     // skip to end of tail loop b/c numIter==0
s_mov_b32 s[sgprOrigLoopCounter], 0                // repurpose to count each localRead increment


/* remove stagger offsets for tail loop */

s_mov_b32 s58, 3                                   // 
s_mul_hi_u32 s57, s58, s[sgprGlobalReadIncsA+0]    // 3 * GlobalReadIncs
s_mul_i32 s56, s58, s[sgprGlobalReadIncsA+0]       // 3 * GlobalReadIncs
s_mul_hi_u32 s59, s[sgprStaggerUIter], s[sgprGlobalReadIncsA+0] // StaggerUIter * GlobalReadIncs
s_mul_i32 s58, s[sgprStaggerUIter], s[sgprGlobalReadIncsA+0] // StaggerUIter * GlobalReadIncs
s_sub_u32 s56, s56, s58                            // start offset S in bytes
s_subb_u32 s57, s57, s59                           // start offset S in bytes
s_sub_u32 s56, s56, s[sgprWrapUA]                  // S - WrapU
s_subb_u32 s57, s57, s[sgprWrapUA+1]               // S - WrapU
s_add_u32 s[sgprSrdA+0], s[sgprSrdA+0], s56        // gra SRD += inc(lower)
s_addc_u32  s[sgprSrdA+1], s[sgprSrdA+1], s57      // gra SRD += inc(upper)
s_sub_u32 s[sgprShadowLimitA+0], s[sgprShadowLimitA+0], s56 // limit -= inc)
s_subb_u32 s[sgprShadowLimitA+1], s[sgprShadowLimitA+1], s57 // limit -= inc)
s_cmp_eq_u32 s[sgprShadowLimitA+1], 0              // are we within 2^32?
s_cselect_b32 s[sgprSrdA+2], s[sgprShadowLimitA+0], BufferLimitA // Move shadow to real if we are within 2^32

s_mov_b32 s58, 3                                   // 
s_mul_hi_u32 s57, s58, s[sgprGlobalReadIncsB+0]    // 3 * GlobalReadIncs
s_mul_i32 s56, s58, s[sgprGlobalReadIncsB+0]       // 3 * GlobalReadIncs
s_mul_hi_u32 s59, s[sgprStaggerUIter], s[sgprGlobalReadIncsB+0] // StaggerUIter * GlobalReadIncs
s_mul_i32 s58, s[sgprStaggerUIter], s[sgprGlobalReadIncsB+0] // StaggerUIter * GlobalReadIncs
s_sub_u32 s56, s56, s58                            // start offset S in bytes
s_subb_u32 s57, s57, s59                           // start offset S in bytes
s_sub_u32 s56, s56, s[sgprWrapUB]                  // S - WrapU
s_subb_u32 s57, s57, s[sgprWrapUB+1]               // S - WrapU
s_add_u32 s[sgprSrdB+0], s[sgprSrdB+0], s56        // gra SRD += inc(lower)
s_addc_u32  s[sgprSrdB+1], s[sgprSrdB+1], s57      // gra SRD += inc(upper)
s_sub_u32 s[sgprShadowLimitB+0], s[sgprShadowLimitB+0], s56 // limit -= inc)
s_subb_u32 s[sgprShadowLimitB+1], s[sgprShadowLimitB+1], s57 // limit -= inc)
s_cmp_eq_u32 s[sgprShadowLimitB+1], 0              // are we within 2^32?
s_cselect_b32 s[sgprSrdB+2], s[sgprShadowLimitB+0], BufferLimitB // Move shadow to real if we are within 2^32


/* Update M0 for DTLDS */



/* global read a */

/* g2l=0, load component 0 */
_buffer_load_d16_u8 v[vgprG2LA+0+0], v[vgprGlobalReadOffsetA+0], s[sgprSrdA:sgprSrdA+3], 0, offen offset:0 // load one buffer value
/* g2l=0, load component 1 */
_buffer_load_d16_u8 v125, v[vgprGlobalReadOffsetA+0], s[sgprSrdA:sgprSrdA+3], 0, offen offset:1 // load one buffer value
/* g2l=0, load component 2 */
_buffer_load_d16_hi_u8 v126, v[vgprGlobalReadOffsetA+0], s[sgprSrdA:sgprSrdA+3], 0, offen offset:2 // load one buffer value
/* g2l=0, load component 3 */
_buffer_load_d16_hi_u8 v127, v[vgprGlobalReadOffsetA+0], s[sgprSrdA:sgprSrdA+3], 0, offen offset:3 // load one buffer value
/* g2l=0, load component 4 */
_buffer_load_d16_u8 v[vgprG2LA+0+1], v[vgprGlobalReadOffsetA+0], s[sgprSrdA:sgprSrdA+3], 0, offen offset:4 // load one buffer value
/* g2l=0, load component 5 */
_buffer_load_d16_u8 v129, v[vgprGlobalReadOffsetA+0], s[sgprSrdA:sgprSrdA+3], 0, offen offset:5 // load one buffer value
/* g2l=0, load component 6 */
_buffer_load_d16_hi_u8 v130, v[vgprGlobalReadOffsetA+0], s[sgprSrdA:sgprSrdA+3], 0, offen offset:6 // load one buffer value
/* g2l=0, load component 7 */
_buffer_load_d16_hi_u8 v131, v[vgprGlobalReadOffsetA+0], s[sgprSrdA:sgprSrdA+3], 0, offen offset:7 // load one buffer value
/* g2l=0, load component 8 */
_buffer_load_d16_u8 v[vgprG2LA+0+2], v[vgprGlobalReadOffsetA+0], s[sgprSrdA:sgprSrdA+3], 0, offen offset:8 // load one buffer value
/* g2l=0, load component 9 */
_buffer_load_d16_u8 v133, v[vgprGlobalReadOffsetA+0], s[sgprSrdA:sgprSrdA+3], 0, offen offset:9 // load one buffer value
/* g2l=0, load component 10 */
_buffer_load_d16_hi_u8 v134, v[vgprGlobalReadOffsetA+0], s[sgprSrdA:sgprSrdA+3], 0, offen offset:10 // load one buffer value
/* g2l=0, load component 11 */
_buffer_load_d16_hi_u8 v135, v[vgprGlobalReadOffsetA+0], s[sgprSrdA:sgprSrdA+3], 0, offen offset:11 // load one buffer value
/* g2l=0, load component 12 */
_buffer_load_d16_u8 v[vgprG2LA+0+3], v[vgprGlobalReadOffsetA+0], s[sgprSrdA:sgprSrdA+3], 0, offen offset:12 // load one buffer value
/* g2l=0, load component 13 */
_buffer_load_d16_u8 v137, v[vgprGlobalReadOffsetA+0], s[sgprSrdA:sgprSrdA+3], 0, offen offset:13 // load one buffer value
/* g2l=0, load component 14 */
_buffer_load_d16_hi_u8 v138, v[vgprGlobalReadOffsetA+0], s[sgprSrdA:sgprSrdA+3], 0, offen offset:14 // load one buffer value
/* g2l=0, load component 15 */
_buffer_load_d16_hi_u8 v139, v[vgprGlobalReadOffsetA+0], s[sgprSrdA:sgprSrdA+3], 0, offen offset:15 // load one buffer value
s_waitcnt vmcnt(14)
v_lshlrev_b32 v125, 0x8, v125                      // shift left to higher 8 bits
v_or_b32 v[vgprG2LA+0+0], v[vgprG2LA+0+0], v125    // pack a sub 8-bit with dest
s_waitcnt vmcnt(13)
v_or_b32 v[vgprG2LA+0+0], v[vgprG2LA+0+0], v126    // pack a sub 8-bit with dest
s_waitcnt vmcnt(12)
v_lshlrev_b32 v127, 0x8, v127                      // shift left to higher 8 bits
v_or_b32 v[vgprG2LA+0+0], v[vgprG2LA+0+0], v127    // pack a sub 8-bit with dest
s_waitcnt vmcnt(10)
v_lshlrev_b32 v129, 0x8, v129                      // shift left to higher 8 bits
v_or_b32 v[vgprG2LA+0+1], v[vgprG2LA+0+1], v129    // pack a sub 8-bit with dest
s_waitcnt vmcnt(9)
v_or_b32 v[vgprG2LA+0+1], v[vgprG2LA+0+1], v130    // pack a sub 8-bit with dest
s_waitcnt vmcnt(8)
v_lshlrev_b32 v131, 0x8, v131                      // shift left to higher 8 bits
v_or_b32 v[vgprG2LA+0+1], v[vgprG2LA+0+1], v131    // pack a sub 8-bit with dest
s_waitcnt vmcnt(6)
v_lshlrev_b32 v133, 0x8, v133                      // shift left to higher 8 bits
v_or_b32 v[vgprG2LA+0+2], v[vgprG2LA+0+2], v133    // pack a sub 8-bit with dest
s_waitcnt vmcnt(5)
v_or_b32 v[vgprG2LA+0+2], v[vgprG2LA+0+2], v134    // pack a sub 8-bit with dest
s_waitcnt vmcnt(4)
v_lshlrev_b32 v135, 0x8, v135                      // shift left to higher 8 bits
v_or_b32 v[vgprG2LA+0+2], v[vgprG2LA+0+2], v135    // pack a sub 8-bit with dest
s_waitcnt vmcnt(2)
v_lshlrev_b32 v137, 0x8, v137                      // shift left to higher 8 bits
v_or_b32 v[vgprG2LA+0+3], v[vgprG2LA+0+3], v137    // pack a sub 8-bit with dest
s_waitcnt vmcnt(1)
v_or_b32 v[vgprG2LA+0+3], v[vgprG2LA+0+3], v138    // pack a sub 8-bit with dest
s_waitcnt vmcnt(0)
v_lshlrev_b32 v139, 0x8, v139                      // shift left to higher 8 bits
v_or_b32 v[vgprG2LA+0+3], v[vgprG2LA+0+3], v139    // pack a sub 8-bit with dest
/* g2l=4, load component 0 */
_buffer_load_d16_u8 v[vgprG2LA+4+0], v[vgprGlobalReadOffsetA+1], s[sgprSrdA:sgprSrdA+3], 0, offen offset:0 // load one buffer value
/* g2l=4, load component 1 */
_buffer_load_d16_u8 v125, v[vgprGlobalReadOffsetA+1], s[sgprSrdA:sgprSrdA+3], 0, offen offset:1 // load one buffer value
/* g2l=4, load component 2 */
_buffer_load_d16_hi_u8 v126, v[vgprGlobalReadOffsetA+1], s[sgprSrdA:sgprSrdA+3], 0, offen offset:2 // load one buffer value
/* g2l=4, load component 3 */
_buffer_load_d16_hi_u8 v127, v[vgprGlobalReadOffsetA+1], s[sgprSrdA:sgprSrdA+3], 0, offen offset:3 // load one buffer value
/* g2l=4, load component 4 */
_buffer_load_d16_u8 v[vgprG2LA+4+1], v[vgprGlobalReadOffsetA+1], s[sgprSrdA:sgprSrdA+3], 0, offen offset:4 // load one buffer value
/* g2l=4, load component 5 */
_buffer_load_d16_u8 v129, v[vgprGlobalReadOffsetA+1], s[sgprSrdA:sgprSrdA+3], 0, offen offset:5 // load one buffer value
/* g2l=4, load component 6 */
_buffer_load_d16_hi_u8 v130, v[vgprGlobalReadOffsetA+1], s[sgprSrdA:sgprSrdA+3], 0, offen offset:6 // load one buffer value
/* g2l=4, load component 7 */
_buffer_load_d16_hi_u8 v131, v[vgprGlobalReadOffsetA+1], s[sgprSrdA:sgprSrdA+3], 0, offen offset:7 // load one buffer value
/* g2l=4, load component 8 */
_buffer_load_d16_u8 v[vgprG2LA+4+2], v[vgprGlobalReadOffsetA+1], s[sgprSrdA:sgprSrdA+3], 0, offen offset:8 // load one buffer value
/* g2l=4, load component 9 */
_buffer_load_d16_u8 v133, v[vgprGlobalReadOffsetA+1], s[sgprSrdA:sgprSrdA+3], 0, offen offset:9 // load one buffer value
/* g2l=4, load component 10 */
_buffer_load_d16_hi_u8 v134, v[vgprGlobalReadOffsetA+1], s[sgprSrdA:sgprSrdA+3], 0, offen offset:10 // load one buffer value
/* g2l=4, load component 11 */
_buffer_load_d16_hi_u8 v135, v[vgprGlobalReadOffsetA+1], s[sgprSrdA:sgprSrdA+3], 0, offen offset:11 // load one buffer value
/* g2l=4, load component 12 */
_buffer_load_d16_u8 v[vgprG2LA+4+3], v[vgprGlobalReadOffsetA+1], s[sgprSrdA:sgprSrdA+3], 0, offen offset:12 // load one buffer value
/* g2l=4, load component 13 */
_buffer_load_d16_u8 v137, v[vgprGlobalReadOffsetA+1], s[sgprSrdA:sgprSrdA+3], 0, offen offset:13 // load one buffer value
/* g2l=4, load component 14 */
_buffer_load_d16_hi_u8 v138, v[vgprGlobalReadOffsetA+1], s[sgprSrdA:sgprSrdA+3], 0, offen offset:14 // load one buffer value
/* g2l=4, load component 15 */
_buffer_load_d16_hi_u8 v139, v[vgprGlobalReadOffsetA+1], s[sgprSrdA:sgprSrdA+3], 0, offen offset:15 // load one buffer value
s_waitcnt vmcnt(14)
v_lshlrev_b32 v125, 0x8, v125                      // shift left to higher 8 bits
v_or_b32 v[vgprG2LA+4+0], v[vgprG2LA+4+0], v125    // pack a sub 8-bit with dest
s_waitcnt vmcnt(13)
v_or_b32 v[vgprG2LA+4+0], v[vgprG2LA+4+0], v126    // pack a sub 8-bit with dest
s_waitcnt vmcnt(12)
v_lshlrev_b32 v127, 0x8, v127                      // shift left to higher 8 bits
v_or_b32 v[vgprG2LA+4+0], v[vgprG2LA+4+0], v127    // pack a sub 8-bit with dest
s_waitcnt vmcnt(10)
v_lshlrev_b32 v129, 0x8, v129                      // shift left to higher 8 bits
v_or_b32 v[vgprG2LA+4+1], v[vgprG2LA+4+1], v129    // pack a sub 8-bit with dest
s_waitcnt vmcnt(9)
v_or_b32 v[vgprG2LA+4+1], v[vgprG2LA+4+1], v130    // pack a sub 8-bit with dest
s_waitcnt vmcnt(8)
v_lshlrev_b32 v131, 0x8, v131                      // shift left to higher 8 bits
v_or_b32 v[vgprG2LA+4+1], v[vgprG2LA+4+1], v131    // pack a sub 8-bit with dest
s_waitcnt vmcnt(6)
v_lshlrev_b32 v133, 0x8, v133                      // shift left to higher 8 bits
v_or_b32 v[vgprG2LA+4+2], v[vgprG2LA+4+2], v133    // pack a sub 8-bit with dest
s_waitcnt vmcnt(5)
v_or_b32 v[vgprG2LA+4+2], v[vgprG2LA+4+2], v134    // pack a sub 8-bit with dest
s_waitcnt vmcnt(4)
v_lshlrev_b32 v135, 0x8, v135                      // shift left to higher 8 bits
v_or_b32 v[vgprG2LA+4+2], v[vgprG2LA+4+2], v135    // pack a sub 8-bit with dest
s_waitcnt vmcnt(2)
v_lshlrev_b32 v137, 0x8, v137                      // shift left to higher 8 bits
v_or_b32 v[vgprG2LA+4+3], v[vgprG2LA+4+3], v137    // pack a sub 8-bit with dest
s_waitcnt vmcnt(1)
v_or_b32 v[vgprG2LA+4+3], v[vgprG2LA+4+3], v138    // pack a sub 8-bit with dest
s_waitcnt vmcnt(0)
v_lshlrev_b32 v139, 0x8, v139                      // shift left to higher 8 bits
v_or_b32 v[vgprG2LA+4+3], v[vgprG2LA+4+3], v139    // pack a sub 8-bit with dest
	;; [unrolled: 64-line block ×3, first 2 shown]
/* g2l=12, load component 0 */
_buffer_load_d16_u8 v[vgprG2LA+12+0], v[vgprGlobalReadOffsetA+3], s[sgprSrdA:sgprSrdA+3], 0, offen offset:0 // load one buffer value
/* g2l=12, load component 1 */
_buffer_load_d16_u8 v125, v[vgprGlobalReadOffsetA+3], s[sgprSrdA:sgprSrdA+3], 0, offen offset:1 // load one buffer value
/* g2l=12, load component 2 */
_buffer_load_d16_hi_u8 v126, v[vgprGlobalReadOffsetA+3], s[sgprSrdA:sgprSrdA+3], 0, offen offset:2 // load one buffer value
/* g2l=12, load component 3 */
_buffer_load_d16_hi_u8 v127, v[vgprGlobalReadOffsetA+3], s[sgprSrdA:sgprSrdA+3], 0, offen offset:3 // load one buffer value
/* g2l=12, load component 4 */
_buffer_load_d16_u8 v[vgprG2LA+12+1], v[vgprGlobalReadOffsetA+3], s[sgprSrdA:sgprSrdA+3], 0, offen offset:4 // load one buffer value
/* g2l=12, load component 5 */
_buffer_load_d16_u8 v129, v[vgprGlobalReadOffsetA+3], s[sgprSrdA:sgprSrdA+3], 0, offen offset:5 // load one buffer value
/* g2l=12, load component 6 */
_buffer_load_d16_hi_u8 v130, v[vgprGlobalReadOffsetA+3], s[sgprSrdA:sgprSrdA+3], 0, offen offset:6 // load one buffer value
/* g2l=12, load component 7 */
_buffer_load_d16_hi_u8 v131, v[vgprGlobalReadOffsetA+3], s[sgprSrdA:sgprSrdA+3], 0, offen offset:7 // load one buffer value
	;; [unrolled: 8-line block ×4, first 2 shown]
s_waitcnt vmcnt(14)
v_lshlrev_b32 v125, 0x8, v125                      // shift left to higher 8 bits
v_or_b32 v[vgprG2LA+12+0], v[vgprG2LA+12+0], v125  // pack a sub 8-bit with dest
s_waitcnt vmcnt(13)
v_or_b32 v[vgprG2LA+12+0], v[vgprG2LA+12+0], v126  // pack a sub 8-bit with dest
s_waitcnt vmcnt(12)
v_lshlrev_b32 v127, 0x8, v127                      // shift left to higher 8 bits
v_or_b32 v[vgprG2LA+12+0], v[vgprG2LA+12+0], v127  // pack a sub 8-bit with dest
s_waitcnt vmcnt(10)
v_lshlrev_b32 v129, 0x8, v129                      // shift left to higher 8 bits
v_or_b32 v[vgprG2LA+12+1], v[vgprG2LA+12+1], v129  // pack a sub 8-bit with dest
s_waitcnt vmcnt(9)
v_or_b32 v[vgprG2LA+12+1], v[vgprG2LA+12+1], v130  // pack a sub 8-bit with dest
s_waitcnt vmcnt(8)
v_lshlrev_b32 v131, 0x8, v131                      // shift left to higher 8 bits
v_or_b32 v[vgprG2LA+12+1], v[vgprG2LA+12+1], v131  // pack a sub 8-bit with dest
	;; [unrolled: 8-line block ×4, first 2 shown]


/* Update M0 for DTLDS */


	;; [unrolled: 1-line block ×3, first 2 shown]
/* global read b */

/* g2l=0, load component 0 */
_buffer_load_d16_u8 v[vgprG2LB+0+0], v[vgprGlobalReadOffsetB+0], s[sgprSrdB:sgprSrdB+3], 0, offen offset:0 // load one buffer value
/* g2l=0, load component 1 */
_buffer_load_d16_u8 v125, v[vgprGlobalReadOffsetB+0], s[sgprSrdB:sgprSrdB+3], 0, offen offset:1 // load one buffer value
/* g2l=0, load component 2 */
_buffer_load_d16_hi_u8 v126, v[vgprGlobalReadOffsetB+0], s[sgprSrdB:sgprSrdB+3], 0, offen offset:2 // load one buffer value
/* g2l=0, load component 3 */
_buffer_load_d16_hi_u8 v127, v[vgprGlobalReadOffsetB+0], s[sgprSrdB:sgprSrdB+3], 0, offen offset:3 // load one buffer value
/* g2l=0, load component 4 */
_buffer_load_d16_u8 v[vgprG2LB+0+1], v[vgprGlobalReadOffsetB+0], s[sgprSrdB:sgprSrdB+3], 0, offen offset:4 // load one buffer value
/* g2l=0, load component 5 */
_buffer_load_d16_u8 v129, v[vgprGlobalReadOffsetB+0], s[sgprSrdB:sgprSrdB+3], 0, offen offset:5 // load one buffer value
/* g2l=0, load component 6 */
_buffer_load_d16_hi_u8 v130, v[vgprGlobalReadOffsetB+0], s[sgprSrdB:sgprSrdB+3], 0, offen offset:6 // load one buffer value
/* g2l=0, load component 7 */
_buffer_load_d16_hi_u8 v131, v[vgprGlobalReadOffsetB+0], s[sgprSrdB:sgprSrdB+3], 0, offen offset:7 // load one buffer value
/* g2l=0, load component 8 */
_buffer_load_d16_u8 v[vgprG2LB+0+2], v[vgprGlobalReadOffsetB+0], s[sgprSrdB:sgprSrdB+3], 0, offen offset:8 // load one buffer value
/* g2l=0, load component 9 */
_buffer_load_d16_u8 v133, v[vgprGlobalReadOffsetB+0], s[sgprSrdB:sgprSrdB+3], 0, offen offset:9 // load one buffer value
/* g2l=0, load component 10 */
_buffer_load_d16_hi_u8 v134, v[vgprGlobalReadOffsetB+0], s[sgprSrdB:sgprSrdB+3], 0, offen offset:10 // load one buffer value
/* g2l=0, load component 11 */
_buffer_load_d16_hi_u8 v135, v[vgprGlobalReadOffsetB+0], s[sgprSrdB:sgprSrdB+3], 0, offen offset:11 // load one buffer value
/* g2l=0, load component 12 */
_buffer_load_d16_u8 v[vgprG2LB+0+3], v[vgprGlobalReadOffsetB+0], s[sgprSrdB:sgprSrdB+3], 0, offen offset:12 // load one buffer value
/* g2l=0, load component 13 */
_buffer_load_d16_u8 v137, v[vgprGlobalReadOffsetB+0], s[sgprSrdB:sgprSrdB+3], 0, offen offset:13 // load one buffer value
/* g2l=0, load component 14 */
_buffer_load_d16_hi_u8 v138, v[vgprGlobalReadOffsetB+0], s[sgprSrdB:sgprSrdB+3], 0, offen offset:14 // load one buffer value
/* g2l=0, load component 15 */
_buffer_load_d16_hi_u8 v139, v[vgprGlobalReadOffsetB+0], s[sgprSrdB:sgprSrdB+3], 0, offen offset:15 // load one buffer value
s_waitcnt vmcnt(14)
v_lshlrev_b32 v125, 0x8, v125                      // shift left to higher 8 bits
v_or_b32 v[vgprG2LB+0+0], v[vgprG2LB+0+0], v125    // pack a sub 8-bit with dest
s_waitcnt vmcnt(13)
v_or_b32 v[vgprG2LB+0+0], v[vgprG2LB+0+0], v126    // pack a sub 8-bit with dest
s_waitcnt vmcnt(12)
v_lshlrev_b32 v127, 0x8, v127                      // shift left to higher 8 bits
v_or_b32 v[vgprG2LB+0+0], v[vgprG2LB+0+0], v127    // pack a sub 8-bit with dest
s_waitcnt vmcnt(10)
v_lshlrev_b32 v129, 0x8, v129                      // shift left to higher 8 bits
v_or_b32 v[vgprG2LB+0+1], v[vgprG2LB+0+1], v129    // pack a sub 8-bit with dest
s_waitcnt vmcnt(9)
v_or_b32 v[vgprG2LB+0+1], v[vgprG2LB+0+1], v130    // pack a sub 8-bit with dest
s_waitcnt vmcnt(8)
v_lshlrev_b32 v131, 0x8, v131                      // shift left to higher 8 bits
v_or_b32 v[vgprG2LB+0+1], v[vgprG2LB+0+1], v131    // pack a sub 8-bit with dest
s_waitcnt vmcnt(6)
v_lshlrev_b32 v133, 0x8, v133                      // shift left to higher 8 bits
v_or_b32 v[vgprG2LB+0+2], v[vgprG2LB+0+2], v133    // pack a sub 8-bit with dest
s_waitcnt vmcnt(5)
v_or_b32 v[vgprG2LB+0+2], v[vgprG2LB+0+2], v134    // pack a sub 8-bit with dest
s_waitcnt vmcnt(4)
v_lshlrev_b32 v135, 0x8, v135                      // shift left to higher 8 bits
v_or_b32 v[vgprG2LB+0+2], v[vgprG2LB+0+2], v135    // pack a sub 8-bit with dest
s_waitcnt vmcnt(2)
v_lshlrev_b32 v137, 0x8, v137                      // shift left to higher 8 bits
v_or_b32 v[vgprG2LB+0+3], v[vgprG2LB+0+3], v137    // pack a sub 8-bit with dest
s_waitcnt vmcnt(1)
v_or_b32 v[vgprG2LB+0+3], v[vgprG2LB+0+3], v138    // pack a sub 8-bit with dest
s_waitcnt vmcnt(0)
v_lshlrev_b32 v139, 0x8, v139                      // shift left to higher 8 bits
v_or_b32 v[vgprG2LB+0+3], v[vgprG2LB+0+3], v139    // pack a sub 8-bit with dest
/* g2l=4, load component 0 */
_buffer_load_d16_u8 v[vgprG2LB+4+0], v[vgprGlobalReadOffsetB+1], s[sgprSrdB:sgprSrdB+3], 0, offen offset:0 // load one buffer value
/* g2l=4, load component 1 */
_buffer_load_d16_u8 v125, v[vgprGlobalReadOffsetB+1], s[sgprSrdB:sgprSrdB+3], 0, offen offset:1 // load one buffer value
/* g2l=4, load component 2 */
_buffer_load_d16_hi_u8 v126, v[vgprGlobalReadOffsetB+1], s[sgprSrdB:sgprSrdB+3], 0, offen offset:2 // load one buffer value
/* g2l=4, load component 3 */
_buffer_load_d16_hi_u8 v127, v[vgprGlobalReadOffsetB+1], s[sgprSrdB:sgprSrdB+3], 0, offen offset:3 // load one buffer value
/* g2l=4, load component 4 */
_buffer_load_d16_u8 v[vgprG2LB+4+1], v[vgprGlobalReadOffsetB+1], s[sgprSrdB:sgprSrdB+3], 0, offen offset:4 // load one buffer value
/* g2l=4, load component 5 */
_buffer_load_d16_u8 v129, v[vgprGlobalReadOffsetB+1], s[sgprSrdB:sgprSrdB+3], 0, offen offset:5 // load one buffer value
/* g2l=4, load component 6 */
_buffer_load_d16_hi_u8 v130, v[vgprGlobalReadOffsetB+1], s[sgprSrdB:sgprSrdB+3], 0, offen offset:6 // load one buffer value
/* g2l=4, load component 7 */
_buffer_load_d16_hi_u8 v131, v[vgprGlobalReadOffsetB+1], s[sgprSrdB:sgprSrdB+3], 0, offen offset:7 // load one buffer value
/* g2l=4, load component 8 */
_buffer_load_d16_u8 v[vgprG2LB+4+2], v[vgprGlobalReadOffsetB+1], s[sgprSrdB:sgprSrdB+3], 0, offen offset:8 // load one buffer value
/* g2l=4, load component 9 */
_buffer_load_d16_u8 v133, v[vgprGlobalReadOffsetB+1], s[sgprSrdB:sgprSrdB+3], 0, offen offset:9 // load one buffer value
/* g2l=4, load component 10 */
_buffer_load_d16_hi_u8 v134, v[vgprGlobalReadOffsetB+1], s[sgprSrdB:sgprSrdB+3], 0, offen offset:10 // load one buffer value
/* g2l=4, load component 11 */
_buffer_load_d16_hi_u8 v135, v[vgprGlobalReadOffsetB+1], s[sgprSrdB:sgprSrdB+3], 0, offen offset:11 // load one buffer value
/* g2l=4, load component 12 */
_buffer_load_d16_u8 v[vgprG2LB+4+3], v[vgprGlobalReadOffsetB+1], s[sgprSrdB:sgprSrdB+3], 0, offen offset:12 // load one buffer value
/* g2l=4, load component 13 */
_buffer_load_d16_u8 v137, v[vgprGlobalReadOffsetB+1], s[sgprSrdB:sgprSrdB+3], 0, offen offset:13 // load one buffer value
/* g2l=4, load component 14 */
_buffer_load_d16_hi_u8 v138, v[vgprGlobalReadOffsetB+1], s[sgprSrdB:sgprSrdB+3], 0, offen offset:14 // load one buffer value
/* g2l=4, load component 15 */
_buffer_load_d16_hi_u8 v139, v[vgprGlobalReadOffsetB+1], s[sgprSrdB:sgprSrdB+3], 0, offen offset:15 // load one buffer value
s_waitcnt vmcnt(14)
v_lshlrev_b32 v125, 0x8, v125                      // shift left to higher 8 bits
v_or_b32 v[vgprG2LB+4+0], v[vgprG2LB+4+0], v125    // pack a sub 8-bit with dest
s_waitcnt vmcnt(13)
v_or_b32 v[vgprG2LB+4+0], v[vgprG2LB+4+0], v126    // pack a sub 8-bit with dest
s_waitcnt vmcnt(12)
v_lshlrev_b32 v127, 0x8, v127                      // shift left to higher 8 bits
v_or_b32 v[vgprG2LB+4+0], v[vgprG2LB+4+0], v127    // pack a sub 8-bit with dest
s_waitcnt vmcnt(10)
v_lshlrev_b32 v129, 0x8, v129                      // shift left to higher 8 bits
v_or_b32 v[vgprG2LB+4+1], v[vgprG2LB+4+1], v129    // pack a sub 8-bit with dest
s_waitcnt vmcnt(9)
v_or_b32 v[vgprG2LB+4+1], v[vgprG2LB+4+1], v130    // pack a sub 8-bit with dest
s_waitcnt vmcnt(8)
v_lshlrev_b32 v131, 0x8, v131                      // shift left to higher 8 bits
v_or_b32 v[vgprG2LB+4+1], v[vgprG2LB+4+1], v131    // pack a sub 8-bit with dest
s_waitcnt vmcnt(6)
v_lshlrev_b32 v133, 0x8, v133                      // shift left to higher 8 bits
v_or_b32 v[vgprG2LB+4+2], v[vgprG2LB+4+2], v133    // pack a sub 8-bit with dest
s_waitcnt vmcnt(5)
v_or_b32 v[vgprG2LB+4+2], v[vgprG2LB+4+2], v134    // pack a sub 8-bit with dest
s_waitcnt vmcnt(4)
v_lshlrev_b32 v135, 0x8, v135                      // shift left to higher 8 bits
v_or_b32 v[vgprG2LB+4+2], v[vgprG2LB+4+2], v135    // pack a sub 8-bit with dest
s_waitcnt vmcnt(2)
v_lshlrev_b32 v137, 0x8, v137                      // shift left to higher 8 bits
v_or_b32 v[vgprG2LB+4+3], v[vgprG2LB+4+3], v137    // pack a sub 8-bit with dest
s_waitcnt vmcnt(1)
v_or_b32 v[vgprG2LB+4+3], v[vgprG2LB+4+3], v138    // pack a sub 8-bit with dest
s_waitcnt vmcnt(0)
v_lshlrev_b32 v139, 0x8, v139                      // shift left to higher 8 bits
v_or_b32 v[vgprG2LB+4+3], v[vgprG2LB+4+3], v139    // pack a sub 8-bit with dest
	;; [unrolled: 64-line block ×3, first 2 shown]
/* g2l=12, load component 0 */
_buffer_load_d16_u8 v[vgprG2LB+12+0], v[vgprGlobalReadOffsetB+3], s[sgprSrdB:sgprSrdB+3], 0, offen offset:0 // load one buffer value
/* g2l=12, load component 1 */
_buffer_load_d16_u8 v125, v[vgprGlobalReadOffsetB+3], s[sgprSrdB:sgprSrdB+3], 0, offen offset:1 // load one buffer value
/* g2l=12, load component 2 */
_buffer_load_d16_hi_u8 v126, v[vgprGlobalReadOffsetB+3], s[sgprSrdB:sgprSrdB+3], 0, offen offset:2 // load one buffer value
/* g2l=12, load component 3 */
_buffer_load_d16_hi_u8 v127, v[vgprGlobalReadOffsetB+3], s[sgprSrdB:sgprSrdB+3], 0, offen offset:3 // load one buffer value
/* g2l=12, load component 4 */
_buffer_load_d16_u8 v[vgprG2LB+12+1], v[vgprGlobalReadOffsetB+3], s[sgprSrdB:sgprSrdB+3], 0, offen offset:4 // load one buffer value
/* g2l=12, load component 5 */
_buffer_load_d16_u8 v129, v[vgprGlobalReadOffsetB+3], s[sgprSrdB:sgprSrdB+3], 0, offen offset:5 // load one buffer value
/* g2l=12, load component 6 */
_buffer_load_d16_hi_u8 v130, v[vgprGlobalReadOffsetB+3], s[sgprSrdB:sgprSrdB+3], 0, offen offset:6 // load one buffer value
/* g2l=12, load component 7 */
_buffer_load_d16_hi_u8 v131, v[vgprGlobalReadOffsetB+3], s[sgprSrdB:sgprSrdB+3], 0, offen offset:7 // load one buffer value
	;; [unrolled: 8-line block ×4, first 2 shown]
s_waitcnt vmcnt(14)
v_lshlrev_b32 v125, 0x8, v125                      // shift left to higher 8 bits
v_or_b32 v[vgprG2LB+12+0], v[vgprG2LB+12+0], v125  // pack a sub 8-bit with dest
s_waitcnt vmcnt(13)
v_or_b32 v[vgprG2LB+12+0], v[vgprG2LB+12+0], v126  // pack a sub 8-bit with dest
s_waitcnt vmcnt(12)
v_lshlrev_b32 v127, 0x8, v127                      // shift left to higher 8 bits
v_or_b32 v[vgprG2LB+12+0], v[vgprG2LB+12+0], v127  // pack a sub 8-bit with dest
s_waitcnt vmcnt(10)
v_lshlrev_b32 v129, 0x8, v129                      // shift left to higher 8 bits
v_or_b32 v[vgprG2LB+12+1], v[vgprG2LB+12+1], v129  // pack a sub 8-bit with dest
s_waitcnt vmcnt(9)
v_or_b32 v[vgprG2LB+12+1], v[vgprG2LB+12+1], v130  // pack a sub 8-bit with dest
s_waitcnt vmcnt(8)
v_lshlrev_b32 v131, 0x8, v131                      // shift left to higher 8 bits
v_or_b32 v[vgprG2LB+12+1], v[vgprG2LB+12+1], v131  // pack a sub 8-bit with dest
	;; [unrolled: 8-line block ×4, first 2 shown]

s_waitcnt vmcnt(0)                                 // lgkmcnt=-1 vmcnt=02wait for global read

// Skip force waitcnt0
s_barrier //


/* Done global A/B reads */




/* local write a */

_ds_store_b128 v[vgprLocalWriteAddrA], v[vgprG2LA+0:vgprG2LA+0+3] offset:0 // lwoA_0_0_0_0 = (0*LSCA) + (0*LSPA)(*MT0I+PAD) = 0
_ds_store_b128 v[vgprLocalWriteAddrA], v[vgprG2LA+4:vgprG2LA+4+3] offset:128 // lwoA_1_0_0_0 = (1*LSCA) + (0*LSPA)(*MT0I+PAD) = 128
_ds_store_b128 v[vgprLocalWriteAddrA], v[vgprG2LA+8:vgprG2LA+8+3] offset:8192 // lwoA_0_0_1_0 = (0*LSCA) + (1*LSPA)(*MT0I+PAD) = 8192
_ds_store_b128 v[vgprLocalWriteAddrA], v[vgprG2LA+12:vgprG2LA+12+3] offset:8320 // lwoA_1_0_1_0 = (1*LSCA) + (1*LSPA)(*MT0I+PAD) = 8320


/* local write b */

_ds_store_b128 v[vgprLocalWriteAddrB], v[vgprG2LB+0:vgprG2LB+0+3] offset:0 // lwoB_0_0_0_0 = (0*LSCB)*(MT1J+PAD) + (0*LSPB) = 0
_ds_store_b128 v[vgprLocalWriteAddrB], v[vgprG2LB+4:vgprG2LB+4+3] offset:4608 // lwoB_0_0_1_0 = (0*LSCB)*(MT1J+PAD) + (1*LSPB) = 4608
_ds_store_b128 v[vgprLocalWriteAddrB], v[vgprG2LB+8:vgprG2LB+8+3] offset:9216 // lwoB_0_0_2_0 = (0*LSCB)*(MT1J+PAD) + (2*LSPB) = 9216
_ds_store_b128 v[vgprLocalWriteAddrB], v[vgprG2LB+12:vgprG2LB+12+3] offset:13824 // lwoB_0_0_3_0 = (0*LSCB)*(MT1J+PAD) + (3*LSPB) = 13824


/* Recalc local read offsets */

/*lr0I*/
v_and_b32 v126, 63, v[vgprSerial]                  // 0. thread id in wave: wtid = tid % wavelength(64)
v_and_b32 v125, 31, v126                           // 1. N offset: nIdx = wtid % MI_N(32)
                                                   // 1. N offset: nOffset = nIdx * nStride(1) (multiplier is 1, do nothing)
                                                   // 2. block offset: bnIdx = bnIdx % num1DBlocks(1) is 0. do nothing
                                                   // 4. apply VectorWidth: bnOffset = bnOffset * vw(1) (multiplier is 1, do nothing)
v_lshrrev_b32 v126, 5, v126                        // 5. K offset: kIdx = wtid / (MIN(32) * MIBB(1))
v_lshlrev_b32 v126, 0xb, v126                      // 5. K offset: lrKOffset = kIdx * mStride(2048)
_v_add_u32 v125, v126, v125                        // 6. offset in wave: lrOffset = bnOffset + lrKOffset
v_lshrrev_b32 v127, 6, v[vgprSerial]               // 7. wave offset in N dimen: wtid = tid / dividedForWaveId(64)
v_and_b32 v126, 3, v127                            // 7. wave offset in M dimen: wtid0 = wtid / num1DWaves(4)
v_lshlrev_b32 v126, 0x5, v126                      // 7. wave offset in M dimen: wOffset = wtid0 * W0Stride(32)
_v_add_u32 v125, v126, v125                        // 8. final local read offset: flrOffset = lrOffset + WOffset
/*lr1J*/
v_and_b32 v127, 63, v[vgprSerial]                  // 0. thread id in wave: wtid = tid % wavelength(64)
v_and_b32 v126, 31, v127                           // 1. N offset: nIdx = wtid % MI_N(32)
v_lshlrev_b32 v126, 0x6, v126                      // 1. N offset: nOffset = nIdx * nStride(64)
                                                   // 2. block offset: bnIdx = bnIdx % num1DBlocks(1) is 0. do nothing
                                                   // 4. apply VectorWidth: bnOffset = bnOffset * vw(1) (multiplier is 1, do nothing)
v_lshrrev_b32 v127, 5, v127                        // 5. K offset: kIdx = wtid / (MIN(32) * MIBB(1))
v_lshlrev_b32 v127, 0x3, v127                      // 5. K offset: lrKOffset = kIdx * mStride(8)
_v_add_u32 v126, v127, v126                        // 6. offset in wave: lrOffset = bnOffset + lrKOffset
v_lshlrev_b32 v[vgprLocalReadAddrA], 0x0, v125     // Final Offset: offset = (lro0)*bpe
/* N/A */
v_lshlrev_b32 v[vgprLocalReadAddrB], 0x0, v126     // Final Offset: offset = (lro1)*bpe
v_lshrrev_b32 v125, 7, v[vgprLocalReadAddrB]       // Final Offset: padding 16 per block 128
v_lshlrev_b32 v125, 0x4, v125                      // Final Offset: padding 16 per block 128
_v_add_u32 v[vgprLocalReadAddrB], v125, v[vgprLocalReadAddrB] // Final Offset: add padding 16 per block 128
_v_add_co_u32 v[vgprLocalReadAddrB+0], vcc, 0x4000, v[vgprLocalReadAddrB+0] //  += LdsOffsetB (lower)

s_waitcnt lgkmcnt(0)                               // lgkmcnt=0 vmcnt=-15wait for local write

// Skip force waitcnt0
s_barrier //


/* local read reset offsets a */


	;; [unrolled: 1-line block ×3, first 2 shown]
/* local read reset offsets b */


	;; [unrolled: 1-line block ×3, first 2 shown]
/* local read init pointers a */


/* localReadInitPointers */


/* local read init pointers b */


/* localReadInitPointers */


/* tail loop: macs */

TailLoopBeginL_6:


/* tail loop unroll iter 0 */


/* local read a */

_ds_load_u8 v[vgprValuA_X0_I0+0], v[vgprLocalReadAddrA] offset:0 // L -> Reg lro=0 swapByteOffset=0 ti=128 vIdx=0 rIdx=0 oIdx=0 buffer=0 iui=0
_ds_load_u8 v125, v[vgprLocalReadAddrA] offset:256 // L -> Reg lro=0 swapByteOffset=0 ti=128 vIdx=0 rIdx=1 oIdx=0 buffer=0 iui=0
_ds_load_u8_d16_hi v126, v[vgprLocalReadAddrA] offset:512 // L -> Reg lro=0 swapByteOffset=0 ti=128 vIdx=0 rIdx=2 oIdx=0 buffer=0 iui=0
_ds_load_u8_d16_hi v127, v[vgprLocalReadAddrA] offset:768 // L -> Reg lro=0 swapByteOffset=0 ti=128 vIdx=0 rIdx=3 oIdx=0 buffer=0 iui=0
_ds_load_u8 v[vgprValuA_X0_I0+1], v[vgprLocalReadAddrA] offset:1024 // L -> Reg lro=0 swapByteOffset=0 ti=128 vIdx=0 rIdx=4 oIdx=0 buffer=0 iui=0
_ds_load_u8 v128, v[vgprLocalReadAddrA] offset:1280 // L -> Reg lro=0 swapByteOffset=0 ti=128 vIdx=0 rIdx=5 oIdx=0 buffer=0 iui=0
_ds_load_u8_d16_hi v129, v[vgprLocalReadAddrA] offset:1536 // L -> Reg lro=0 swapByteOffset=0 ti=128 vIdx=0 rIdx=6 oIdx=0 buffer=0 iui=0
_ds_load_u8_d16_hi v130, v[vgprLocalReadAddrA] offset:1792 // L -> Reg lro=0 swapByteOffset=0 ti=128 vIdx=0 rIdx=7 oIdx=0 buffer=0 iui=0
	;; [unrolled: 4-line block ×4, first 2 shown]


/* local read b */

_ds_load_b64 v[vgprValuB_X0_I0+0:vgprValuB_X0_I0+0+1], v[vgprLocalReadAddrB] offset:0 // L -> Reg lro=0 swapByteOffset=0 ti=32 vIdx=0 rIdx=0 oIdx=0 buffer=0 iui=0
_ds_load_b64 v[vgprValuB_X0_I0+2:vgprValuB_X0_I0+2+1], v[vgprLocalReadAddrB] offset:2304 // L -> Reg lro=0 swapByteOffset=0 ti=32 vIdx=1 rIdx=0 oIdx=0 buffer=0 iui=0
	;; [unrolled: 1-line block ×8, first 2 shown]


/* local read inc a */

s_mov_b32 s56, 0x1000                              // inc
_v_add_co_u32 v[vgprLocalReadAddrA], vcc, s56, v[vgprLocalReadAddrA] // lrA += 4096 (LSU*(MT+PAD)*bpe)


/* local read inc b */

s_mov_b32 s56, 0x10                                // inc
_v_add_co_u32 v[vgprLocalReadAddrB], vcc, s56, v[vgprLocalReadAddrB] // lrB += 16 (LSU*bpe)

s_waitcnt lgkmcnt(0)                               // lgkmcnt=0 vmcnt=-14wait for local read

_v_lshl_or_b32 v[vgprValuA_X0_I0+0], v125, 0x8, v[vgprValuA_X0_I0+0] // pack two int8 Vgpr to one half Vgpr
_v_lshl_or_b32 v126, v127, 0x8, v126               // pack two int8 Vgpr to one half Vgpr
v_or_b32 v[vgprValuA_X0_I0+0], v[vgprValuA_X0_I0+0], v126 // pack two half Vgpr to one Vgpr
_v_lshl_or_b32 v[vgprValuA_X0_I0+1], v128, 0x8, v[vgprValuA_X0_I0+1] // pack two int8 Vgpr to one half Vgpr
_v_lshl_or_b32 v129, v130, 0x8, v129               // pack two int8 Vgpr to one half Vgpr
v_or_b32 v[vgprValuA_X0_I0+1], v[vgprValuA_X0_I0+1], v129 // pack two half Vgpr to one Vgpr
	;; [unrolled: 3-line block ×4, first 2 shown]


/* tail loop mfma iter 0: numReadsIterCoalescedA=1, numReadsIterCoalescedB=1 */
v_and_b32 v125, 63, v[vgprSerial]                  // v125 = v[vgprSerial] % 64
v_lshrrev_b32 v125, 5, v125                        // v125 = v125 / 32
v_lshlrev_b32 v125, 0x3, v125                      // v125 = v125 * 8
v_cmp_ge_i32 s[56:57], v125, s[sgprLoopCounterL]   // check K index >= Size L
v_cndmask_b32 v[vgprValuB_X0_I0+0+0+0+0], v[vgprValuB_X0_I0+0+0+0+0], 0x0, s[56:57] // set 0 if K_idx >= sizeL
v_cndmask_b32 v[vgprValuB_X0_I0+2+0+0+0], v[vgprValuB_X0_I0+2+0+0+0], 0x0, s[56:57] // set 0 if K_idx >= sizeL
	;; [unrolled: 1-line block ×16, first 2 shown]
_v_sub_u32 v125, s[sgprLoopCounterL], v125         // get distance between size and k index
v_cmp_lt_i32 s[56:57], v125, 8                     // set partial 0 if distance less than input per thread
s_and_b32 s58, s[sgprLoopCounterL], 7              // get inputs for edge thread
s_sub_u32 s58, 8, s58                              // use shift to fill 0 for outside element
s_lshl_b32 s58, s58, 3                             // use shift to fill 0 for outside element
v_mov_b32 v126, -1                                 // set 0xffffffff
v_mov_b32 v127, -1                                 // set 0xffffffff
v_lshrrev_b64 v[126:127], s58, v[126:127]          // rshift mask for partial k
v_cndmask_b32 v126, -1, v126, s[56:57]             // select shifted mask for partial k
v_cndmask_b32 v127, -1, v127, s[56:57]             // select shifted mask for partial k
v_and_b32 v[vgprValuB_X0_I0+0+0+0+0], v[vgprValuB_X0_I0+0+0+0+0], v126 // 
v_and_b32 v[vgprValuB_X0_I0+0+0+0+1], v[vgprValuB_X0_I0+0+0+0+1], v127 // 
	;; [unrolled: 1-line block ×16, first 2 shown]
s_nop 1
v_mfma_f32_32x32x16_fp8_fp8 a[0+0:15+0], v[vgprValuA_X0_I0+0+0+0:vgprValuA_X0_I0+0+0+0+1], v[vgprValuB_X0_I0+0+0+0:vgprValuB_X0_I0+0+0+0+1], a[0:15]
v_mfma_f32_32x32x16_fp8_fp8 a[16+0:31+0], v[vgprValuA_X0_I0+2+0+0:vgprValuA_X0_I0+2+0+0+1], v[vgprValuB_X0_I0+0+0+0:vgprValuB_X0_I0+0+0+0+1], a[16:31]
	;; [unrolled: 1-line block ×16, first 2 shown]


/* closeLoop loopL finalLoop=0 tailLoop=1 */
s_sub_i32 s[sgprLoopCounterL], s[sgprLoopCounterL], 0x10 // dec counterL (tailLoop)
s_add_u32 s[sgprOrigLoopCounter], s[sgprOrigLoopCounter], 0x10 // inc counterL
s_cmp_le_i32 s[sgprLoopCounterL], 0x0              // counterL<=0
s_cbranch_scc1 TailLoopEndL_7                      // exit LoopL


/* tail loop unroll iter 1 */


/* local read a */

_ds_load_u8 v[vgprValuA_X1_I0+0], v[vgprLocalReadAddrA] offset:0 // L -> Reg lro=0 swapByteOffset=0 ti=128 vIdx=0 rIdx=0 oIdx=0 buffer=1 iui=0
_ds_load_u8 v125, v[vgprLocalReadAddrA] offset:256 // L -> Reg lro=0 swapByteOffset=0 ti=128 vIdx=0 rIdx=1 oIdx=0 buffer=1 iui=0
_ds_load_u8_d16_hi v126, v[vgprLocalReadAddrA] offset:512 // L -> Reg lro=0 swapByteOffset=0 ti=128 vIdx=0 rIdx=2 oIdx=0 buffer=1 iui=0
_ds_load_u8_d16_hi v127, v[vgprLocalReadAddrA] offset:768 // L -> Reg lro=0 swapByteOffset=0 ti=128 vIdx=0 rIdx=3 oIdx=0 buffer=1 iui=0
_ds_load_u8 v[vgprValuA_X1_I0+1], v[vgprLocalReadAddrA] offset:1024 // L -> Reg lro=0 swapByteOffset=0 ti=128 vIdx=0 rIdx=4 oIdx=0 buffer=1 iui=0
_ds_load_u8 v128, v[vgprLocalReadAddrA] offset:1280 // L -> Reg lro=0 swapByteOffset=0 ti=128 vIdx=0 rIdx=5 oIdx=0 buffer=1 iui=0
_ds_load_u8_d16_hi v129, v[vgprLocalReadAddrA] offset:1536 // L -> Reg lro=0 swapByteOffset=0 ti=128 vIdx=0 rIdx=6 oIdx=0 buffer=1 iui=0
_ds_load_u8_d16_hi v130, v[vgprLocalReadAddrA] offset:1792 // L -> Reg lro=0 swapByteOffset=0 ti=128 vIdx=0 rIdx=7 oIdx=0 buffer=1 iui=0
	;; [unrolled: 4-line block ×4, first 2 shown]


/* local read b */

_ds_load_b64 v[vgprValuB_X1_I0+0:vgprValuB_X1_I0+0+1], v[vgprLocalReadAddrB] offset:0 // L -> Reg lro=0 swapByteOffset=0 ti=32 vIdx=0 rIdx=0 oIdx=0 buffer=1 iui=0
_ds_load_b64 v[vgprValuB_X1_I0+2:vgprValuB_X1_I0+2+1], v[vgprLocalReadAddrB] offset:2304 // L -> Reg lro=0 swapByteOffset=0 ti=32 vIdx=1 rIdx=0 oIdx=0 buffer=1 iui=0
	;; [unrolled: 1-line block ×8, first 2 shown]


/* local read inc a */

s_mov_b32 s56, 0x1000                              // inc
_v_add_co_u32 v[vgprLocalReadAddrA], vcc, s56, v[vgprLocalReadAddrA] // lrA += 4096 (LSU*(MT+PAD)*bpe)


/* local read inc b */

s_mov_b32 s56, 0x10                                // inc
_v_add_co_u32 v[vgprLocalReadAddrB], vcc, s56, v[vgprLocalReadAddrB] // lrB += 16 (LSU*bpe)

s_waitcnt lgkmcnt(0)                               // lgkmcnt=0 vmcnt=-14wait for local read

_v_lshl_or_b32 v[vgprValuA_X1_I0+0], v125, 0x8, v[vgprValuA_X1_I0+0] // pack two int8 Vgpr to one half Vgpr
_v_lshl_or_b32 v126, v127, 0x8, v126               // pack two int8 Vgpr to one half Vgpr
v_or_b32 v[vgprValuA_X1_I0+0], v[vgprValuA_X1_I0+0], v126 // pack two half Vgpr to one Vgpr
_v_lshl_or_b32 v[vgprValuA_X1_I0+1], v128, 0x8, v[vgprValuA_X1_I0+1] // pack two int8 Vgpr to one half Vgpr
_v_lshl_or_b32 v129, v130, 0x8, v129               // pack two int8 Vgpr to one half Vgpr
v_or_b32 v[vgprValuA_X1_I0+1], v[vgprValuA_X1_I0+1], v129 // pack two half Vgpr to one Vgpr
	;; [unrolled: 3-line block ×4, first 2 shown]


/* tail loop mfma iter 1: numReadsIterCoalescedA=1, numReadsIterCoalescedB=1 */
v_and_b32 v125, 63, v[vgprSerial]                  // v125 = v[vgprSerial] % 64
v_lshrrev_b32 v125, 5, v125                        // v125 = v125 / 32
v_lshlrev_b32 v125, 0x3, v125                      // v125 = v125 * 8
v_cmp_ge_i32 s[56:57], v125, s[sgprLoopCounterL]   // check K index >= Size L
v_cndmask_b32 v[vgprValuB_X1_I0+0+0+0+0], v[vgprValuB_X1_I0+0+0+0+0], 0x0, s[56:57] // set 0 if K_idx >= sizeL
v_cndmask_b32 v[vgprValuB_X1_I0+2+0+0+0], v[vgprValuB_X1_I0+2+0+0+0], 0x0, s[56:57] // set 0 if K_idx >= sizeL
	;; [unrolled: 1-line block ×16, first 2 shown]
_v_sub_u32 v125, s[sgprLoopCounterL], v125         // get distance between size and k index
v_cmp_lt_i32 s[56:57], v125, 8                     // set partial 0 if distance less than input per thread
s_and_b32 s58, s[sgprLoopCounterL], 7              // get inputs for edge thread
s_sub_u32 s58, 8, s58                              // use shift to fill 0 for outside element
s_lshl_b32 s58, s58, 3                             // use shift to fill 0 for outside element
v_mov_b32 v126, -1                                 // set 0xffffffff
v_mov_b32 v127, -1                                 // set 0xffffffff
v_lshrrev_b64 v[126:127], s58, v[126:127]          // rshift mask for partial k
v_cndmask_b32 v126, -1, v126, s[56:57]             // select shifted mask for partial k
v_cndmask_b32 v127, -1, v127, s[56:57]             // select shifted mask for partial k
v_and_b32 v[vgprValuB_X1_I0+0+0+0+0], v[vgprValuB_X1_I0+0+0+0+0], v126 // 
v_and_b32 v[vgprValuB_X1_I0+0+0+0+1], v[vgprValuB_X1_I0+0+0+0+1], v127 // 
	;; [unrolled: 1-line block ×16, first 2 shown]
s_nop 1
v_mfma_f32_32x32x16_fp8_fp8 a[0+0:15+0], v[vgprValuA_X1_I0+0+0+0:vgprValuA_X1_I0+0+0+0+1], v[vgprValuB_X1_I0+0+0+0:vgprValuB_X1_I0+0+0+0+1], a[0:15]
v_mfma_f32_32x32x16_fp8_fp8 a[16+0:31+0], v[vgprValuA_X1_I0+2+0+0:vgprValuA_X1_I0+2+0+0+1], v[vgprValuB_X1_I0+0+0+0:vgprValuB_X1_I0+0+0+0+1], a[16:31]
	;; [unrolled: 1-line block ×16, first 2 shown]


/* closeLoop loopL finalLoop=0 tailLoop=1 */
s_sub_i32 s[sgprLoopCounterL], s[sgprLoopCounterL], 0x10 // dec counterL (tailLoop)
s_add_u32 s[sgprOrigLoopCounter], s[sgprOrigLoopCounter], 0x10 // inc counterL
s_cmp_le_i32 s[sgprLoopCounterL], 0x0              // counterL<=0
s_cbranch_scc1 TailLoopEndL_7                      // exit LoopL


/* tail loop unroll iter 2 */


/* local read a */

_ds_load_u8 v[vgprValuA_X2_I0+0], v[vgprLocalReadAddrA] offset:0 // L -> Reg lro=0 swapByteOffset=0 ti=128 vIdx=0 rIdx=0 oIdx=0 buffer=2 iui=0
_ds_load_u8 v125, v[vgprLocalReadAddrA] offset:256 // L -> Reg lro=0 swapByteOffset=0 ti=128 vIdx=0 rIdx=1 oIdx=0 buffer=2 iui=0
_ds_load_u8_d16_hi v126, v[vgprLocalReadAddrA] offset:512 // L -> Reg lro=0 swapByteOffset=0 ti=128 vIdx=0 rIdx=2 oIdx=0 buffer=2 iui=0
_ds_load_u8_d16_hi v127, v[vgprLocalReadAddrA] offset:768 // L -> Reg lro=0 swapByteOffset=0 ti=128 vIdx=0 rIdx=3 oIdx=0 buffer=2 iui=0
_ds_load_u8 v[vgprValuA_X2_I0+1], v[vgprLocalReadAddrA] offset:1024 // L -> Reg lro=0 swapByteOffset=0 ti=128 vIdx=0 rIdx=4 oIdx=0 buffer=2 iui=0
_ds_load_u8 v128, v[vgprLocalReadAddrA] offset:1280 // L -> Reg lro=0 swapByteOffset=0 ti=128 vIdx=0 rIdx=5 oIdx=0 buffer=2 iui=0
_ds_load_u8_d16_hi v129, v[vgprLocalReadAddrA] offset:1536 // L -> Reg lro=0 swapByteOffset=0 ti=128 vIdx=0 rIdx=6 oIdx=0 buffer=2 iui=0
_ds_load_u8_d16_hi v130, v[vgprLocalReadAddrA] offset:1792 // L -> Reg lro=0 swapByteOffset=0 ti=128 vIdx=0 rIdx=7 oIdx=0 buffer=2 iui=0
	;; [unrolled: 4-line block ×4, first 2 shown]


/* local read b */

_ds_load_b64 v[vgprValuB_X2_I0+0:vgprValuB_X2_I0+0+1], v[vgprLocalReadAddrB] offset:0 // L -> Reg lro=0 swapByteOffset=0 ti=32 vIdx=0 rIdx=0 oIdx=0 buffer=2 iui=0
_ds_load_b64 v[vgprValuB_X2_I0+2:vgprValuB_X2_I0+2+1], v[vgprLocalReadAddrB] offset:2304 // L -> Reg lro=0 swapByteOffset=0 ti=32 vIdx=1 rIdx=0 oIdx=0 buffer=2 iui=0
_ds_load_b64 v[vgprValuB_X2_I0+4:vgprValuB_X2_I0+4+1], v[vgprLocalReadAddrB] offset:4608 // L -> Reg lro=0 swapByteOffset=0 ti=32 vIdx=2 rIdx=0 oIdx=0 buffer=2 iui=0
_ds_load_b64 v[vgprValuB_X2_I0+6:vgprValuB_X2_I0+6+1], v[vgprLocalReadAddrB] offset:6912 // L -> Reg lro=0 swapByteOffset=0 ti=32 vIdx=3 rIdx=0 oIdx=0 buffer=2 iui=0
_ds_load_b64 v[vgprValuB_X2_I0+8:vgprValuB_X2_I0+8+1], v[vgprLocalReadAddrB] offset:9216 // L -> Reg lro=0 swapByteOffset=0 ti=32 vIdx=4 rIdx=0 oIdx=0 buffer=2 iui=0
_ds_load_b64 v[vgprValuB_X2_I0+10:vgprValuB_X2_I0+10+1], v[vgprLocalReadAddrB] offset:11520 // L -> Reg lro=0 swapByteOffset=0 ti=32 vIdx=5 rIdx=0 oIdx=0 buffer=2 iui=0
_ds_load_b64 v[vgprValuB_X2_I0+12:vgprValuB_X2_I0+12+1], v[vgprLocalReadAddrB] offset:13824 // L -> Reg lro=0 swapByteOffset=0 ti=32 vIdx=6 rIdx=0 oIdx=0 buffer=2 iui=0
_ds_load_b64 v[vgprValuB_X2_I0+14:vgprValuB_X2_I0+14+1], v[vgprLocalReadAddrB] offset:16128 // L -> Reg lro=0 swapByteOffset=0 ti=32 vIdx=7 rIdx=0 oIdx=0 buffer=2 iui=0


/* local read inc a */

s_mov_b32 s56, 0x1000                              // inc
_v_add_co_u32 v[vgprLocalReadAddrA], vcc, s56, v[vgprLocalReadAddrA] // lrA += 4096 (LSU*(MT+PAD)*bpe)


/* local read inc b */

s_mov_b32 s56, 0x10                                // inc
_v_add_co_u32 v[vgprLocalReadAddrB], vcc, s56, v[vgprLocalReadAddrB] // lrB += 16 (LSU*bpe)

s_waitcnt lgkmcnt(0)                               // lgkmcnt=0 vmcnt=-14wait for local read

_v_lshl_or_b32 v[vgprValuA_X2_I0+0], v125, 0x8, v[vgprValuA_X2_I0+0] // pack two int8 Vgpr to one half Vgpr
_v_lshl_or_b32 v126, v127, 0x8, v126               // pack two int8 Vgpr to one half Vgpr
v_or_b32 v[vgprValuA_X2_I0+0], v[vgprValuA_X2_I0+0], v126 // pack two half Vgpr to one Vgpr
_v_lshl_or_b32 v[vgprValuA_X2_I0+1], v128, 0x8, v[vgprValuA_X2_I0+1] // pack two int8 Vgpr to one half Vgpr
_v_lshl_or_b32 v129, v130, 0x8, v129               // pack two int8 Vgpr to one half Vgpr
v_or_b32 v[vgprValuA_X2_I0+1], v[vgprValuA_X2_I0+1], v129 // pack two half Vgpr to one Vgpr
	;; [unrolled: 3-line block ×4, first 2 shown]


/* tail loop mfma iter 2: numReadsIterCoalescedA=1, numReadsIterCoalescedB=1 */
v_and_b32 v125, 63, v[vgprSerial]                  // v125 = v[vgprSerial] % 64
v_lshrrev_b32 v125, 5, v125                        // v125 = v125 / 32
v_lshlrev_b32 v125, 0x3, v125                      // v125 = v125 * 8
v_cmp_ge_i32 s[56:57], v125, s[sgprLoopCounterL]   // check K index >= Size L
v_cndmask_b32 v[vgprValuB_X2_I0+0+0+0+0], v[vgprValuB_X2_I0+0+0+0+0], 0x0, s[56:57] // set 0 if K_idx >= sizeL
v_cndmask_b32 v[vgprValuB_X2_I0+2+0+0+0], v[vgprValuB_X2_I0+2+0+0+0], 0x0, s[56:57] // set 0 if K_idx >= sizeL
	;; [unrolled: 1-line block ×16, first 2 shown]
_v_sub_u32 v125, s[sgprLoopCounterL], v125         // get distance between size and k index
v_cmp_lt_i32 s[56:57], v125, 8                     // set partial 0 if distance less than input per thread
s_and_b32 s58, s[sgprLoopCounterL], 7              // get inputs for edge thread
s_sub_u32 s58, 8, s58                              // use shift to fill 0 for outside element
s_lshl_b32 s58, s58, 3                             // use shift to fill 0 for outside element
v_mov_b32 v126, -1                                 // set 0xffffffff
v_mov_b32 v127, -1                                 // set 0xffffffff
v_lshrrev_b64 v[126:127], s58, v[126:127]          // rshift mask for partial k
v_cndmask_b32 v126, -1, v126, s[56:57]             // select shifted mask for partial k
v_cndmask_b32 v127, -1, v127, s[56:57]             // select shifted mask for partial k
v_and_b32 v[vgprValuB_X2_I0+0+0+0+0], v[vgprValuB_X2_I0+0+0+0+0], v126 // 
v_and_b32 v[vgprValuB_X2_I0+0+0+0+1], v[vgprValuB_X2_I0+0+0+0+1], v127 // 
v_and_b32 v[vgprValuB_X2_I0+2+0+0+0], v[vgprValuB_X2_I0+2+0+0+0], v126 // 
v_and_b32 v[vgprValuB_X2_I0+2+0+0+1], v[vgprValuB_X2_I0+2+0+0+1], v127 // 
v_and_b32 v[vgprValuB_X2_I0+4+0+0+0], v[vgprValuB_X2_I0+4+0+0+0], v126 // 
v_and_b32 v[vgprValuB_X2_I0+4+0+0+1], v[vgprValuB_X2_I0+4+0+0+1], v127 // 
v_and_b32 v[vgprValuB_X2_I0+6+0+0+0], v[vgprValuB_X2_I0+6+0+0+0], v126 // 
v_and_b32 v[vgprValuB_X2_I0+6+0+0+1], v[vgprValuB_X2_I0+6+0+0+1], v127 // 
v_and_b32 v[vgprValuB_X2_I0+8+0+0+0], v[vgprValuB_X2_I0+8+0+0+0], v126 // 
v_and_b32 v[vgprValuB_X2_I0+8+0+0+1], v[vgprValuB_X2_I0+8+0+0+1], v127 // 
v_and_b32 v[vgprValuB_X2_I0+10+0+0+0], v[vgprValuB_X2_I0+10+0+0+0], v126 // 
v_and_b32 v[vgprValuB_X2_I0+10+0+0+1], v[vgprValuB_X2_I0+10+0+0+1], v127 // 
v_and_b32 v[vgprValuB_X2_I0+12+0+0+0], v[vgprValuB_X2_I0+12+0+0+0], v126 // 
v_and_b32 v[vgprValuB_X2_I0+12+0+0+1], v[vgprValuB_X2_I0+12+0+0+1], v127 // 
v_and_b32 v[vgprValuB_X2_I0+14+0+0+0], v[vgprValuB_X2_I0+14+0+0+0], v126 // 
v_and_b32 v[vgprValuB_X2_I0+14+0+0+1], v[vgprValuB_X2_I0+14+0+0+1], v127 // 
s_nop 1
v_mfma_f32_32x32x16_fp8_fp8 a[0+0:15+0], v[vgprValuA_X2_I0+0+0+0:vgprValuA_X2_I0+0+0+0+1], v[vgprValuB_X2_I0+0+0+0:vgprValuB_X2_I0+0+0+0+1], a[0:15]
v_mfma_f32_32x32x16_fp8_fp8 a[16+0:31+0], v[vgprValuA_X2_I0+2+0+0:vgprValuA_X2_I0+2+0+0+1], v[vgprValuB_X2_I0+0+0+0:vgprValuB_X2_I0+0+0+0+1], a[16:31]
	;; [unrolled: 1-line block ×16, first 2 shown]


/* closeLoop loopL finalLoop=0 tailLoop=1 */
s_sub_i32 s[sgprLoopCounterL], s[sgprLoopCounterL], 0x10 // dec counterL (tailLoop)
s_add_u32 s[sgprOrigLoopCounter], s[sgprOrigLoopCounter], 0x10 // inc counterL
s_cmp_le_i32 s[sgprLoopCounterL], 0x0              // counterL<=0
s_cbranch_scc1 TailLoopEndL_7                      // exit LoopL


/* tail loop unroll iter 3 */


/* local read a */

_ds_load_u8 v[vgprValuA_X3_I0+0], v[vgprLocalReadAddrA] offset:0 // L -> Reg lro=0 swapByteOffset=0 ti=128 vIdx=0 rIdx=0 oIdx=0 buffer=3 iui=0
_ds_load_u8 v125, v[vgprLocalReadAddrA] offset:256 // L -> Reg lro=0 swapByteOffset=0 ti=128 vIdx=0 rIdx=1 oIdx=0 buffer=3 iui=0
_ds_load_u8_d16_hi v126, v[vgprLocalReadAddrA] offset:512 // L -> Reg lro=0 swapByteOffset=0 ti=128 vIdx=0 rIdx=2 oIdx=0 buffer=3 iui=0
_ds_load_u8_d16_hi v127, v[vgprLocalReadAddrA] offset:768 // L -> Reg lro=0 swapByteOffset=0 ti=128 vIdx=0 rIdx=3 oIdx=0 buffer=3 iui=0
_ds_load_u8 v[vgprValuA_X3_I0+1], v[vgprLocalReadAddrA] offset:1024 // L -> Reg lro=0 swapByteOffset=0 ti=128 vIdx=0 rIdx=4 oIdx=0 buffer=3 iui=0
_ds_load_u8 v128, v[vgprLocalReadAddrA] offset:1280 // L -> Reg lro=0 swapByteOffset=0 ti=128 vIdx=0 rIdx=5 oIdx=0 buffer=3 iui=0
_ds_load_u8_d16_hi v129, v[vgprLocalReadAddrA] offset:1536 // L -> Reg lro=0 swapByteOffset=0 ti=128 vIdx=0 rIdx=6 oIdx=0 buffer=3 iui=0
_ds_load_u8_d16_hi v130, v[vgprLocalReadAddrA] offset:1792 // L -> Reg lro=0 swapByteOffset=0 ti=128 vIdx=0 rIdx=7 oIdx=0 buffer=3 iui=0
	;; [unrolled: 4-line block ×4, first 2 shown]


/* local read b */

_ds_load_b64 v[vgprValuB_X3_I0+0:vgprValuB_X3_I0+0+1], v[vgprLocalReadAddrB] offset:0 // L -> Reg lro=0 swapByteOffset=0 ti=32 vIdx=0 rIdx=0 oIdx=0 buffer=3 iui=0
_ds_load_b64 v[vgprValuB_X3_I0+2:vgprValuB_X3_I0+2+1], v[vgprLocalReadAddrB] offset:2304 // L -> Reg lro=0 swapByteOffset=0 ti=32 vIdx=1 rIdx=0 oIdx=0 buffer=3 iui=0
	;; [unrolled: 1-line block ×8, first 2 shown]


/* local read inc a */

s_mov_b32 s56, 0x1000                              // inc
_v_add_co_u32 v[vgprLocalReadAddrA], vcc, s56, v[vgprLocalReadAddrA] // lrA += 4096 (LSU*(MT+PAD)*bpe)


/* local read inc b */

s_mov_b32 s56, 0x10                                // inc
_v_add_co_u32 v[vgprLocalReadAddrB], vcc, s56, v[vgprLocalReadAddrB] // lrB += 16 (LSU*bpe)

s_waitcnt lgkmcnt(0)                               // lgkmcnt=0 vmcnt=-14wait for local read

_v_lshl_or_b32 v[vgprValuA_X3_I0+0], v125, 0x8, v[vgprValuA_X3_I0+0] // pack two int8 Vgpr to one half Vgpr
_v_lshl_or_b32 v126, v127, 0x8, v126               // pack two int8 Vgpr to one half Vgpr
v_or_b32 v[vgprValuA_X3_I0+0], v[vgprValuA_X3_I0+0], v126 // pack two half Vgpr to one Vgpr
_v_lshl_or_b32 v[vgprValuA_X3_I0+1], v128, 0x8, v[vgprValuA_X3_I0+1] // pack two int8 Vgpr to one half Vgpr
_v_lshl_or_b32 v129, v130, 0x8, v129               // pack two int8 Vgpr to one half Vgpr
v_or_b32 v[vgprValuA_X3_I0+1], v[vgprValuA_X3_I0+1], v129 // pack two half Vgpr to one Vgpr
	;; [unrolled: 3-line block ×4, first 2 shown]


/* tail loop mfma iter 3: numReadsIterCoalescedA=1, numReadsIterCoalescedB=1 */
v_and_b32 v125, 63, v[vgprSerial]                  // v125 = v[vgprSerial] % 64
v_lshrrev_b32 v125, 5, v125                        // v125 = v125 / 32
v_lshlrev_b32 v125, 0x3, v125                      // v125 = v125 * 8
v_cmp_ge_i32 s[56:57], v125, s[sgprLoopCounterL]   // check K index >= Size L
v_cndmask_b32 v[vgprValuB_X3_I0+0+0+0+0], v[vgprValuB_X3_I0+0+0+0+0], 0x0, s[56:57] // set 0 if K_idx >= sizeL
v_cndmask_b32 v[vgprValuB_X3_I0+2+0+0+0], v[vgprValuB_X3_I0+2+0+0+0], 0x0, s[56:57] // set 0 if K_idx >= sizeL
	;; [unrolled: 1-line block ×16, first 2 shown]
_v_sub_u32 v125, s[sgprLoopCounterL], v125         // get distance between size and k index
v_cmp_lt_i32 s[56:57], v125, 8                     // set partial 0 if distance less than input per thread
s_and_b32 s58, s[sgprLoopCounterL], 7              // get inputs for edge thread
s_sub_u32 s58, 8, s58                              // use shift to fill 0 for outside element
s_lshl_b32 s58, s58, 3                             // use shift to fill 0 for outside element
v_mov_b32 v126, -1                                 // set 0xffffffff
v_mov_b32 v127, -1                                 // set 0xffffffff
v_lshrrev_b64 v[126:127], s58, v[126:127]          // rshift mask for partial k
v_cndmask_b32 v126, -1, v126, s[56:57]             // select shifted mask for partial k
v_cndmask_b32 v127, -1, v127, s[56:57]             // select shifted mask for partial k
v_and_b32 v[vgprValuB_X3_I0+0+0+0+0], v[vgprValuB_X3_I0+0+0+0+0], v126 // 
v_and_b32 v[vgprValuB_X3_I0+0+0+0+1], v[vgprValuB_X3_I0+0+0+0+1], v127 // 
	;; [unrolled: 1-line block ×16, first 2 shown]
s_nop 1
v_mfma_f32_32x32x16_fp8_fp8 a[0+0:15+0], v[vgprValuA_X3_I0+0+0+0:vgprValuA_X3_I0+0+0+0+1], v[vgprValuB_X3_I0+0+0+0:vgprValuB_X3_I0+0+0+0+1], a[0:15]
v_mfma_f32_32x32x16_fp8_fp8 a[16+0:31+0], v[vgprValuA_X3_I0+2+0+0:vgprValuA_X3_I0+2+0+0+1], v[vgprValuB_X3_I0+0+0+0:vgprValuB_X3_I0+0+0+0+1], a[16:31]
	;; [unrolled: 1-line block ×16, first 2 shown]


/* closeLoop loopL finalLoop=1 tailLoop=1 */
s_sub_i32 s[sgprLoopCounterL], s[sgprLoopCounterL], 0x10 // dec counterL (tailLoop)
s_add_u32 s[sgprOrigLoopCounter], s[sgprOrigLoopCounter], 0x10 // inc counterL
s_cmp_le_i32 s[sgprLoopCounterL], 0x0              // counterL<=0
s_cbranch_scc0 TailLoopBeginL_6                    // restart LoopL
TailLoopEndL_7:

SkipTailLoopL_8:

Summation_End_30:
/* endSummation: add vgpr [0...122) to pool */
.set NumFullBlocks, UNDEF
.set WgmRemainder1, UNDEF
.set MagicNumberWgmRemainder1, UNDEF

/* Mapping of Acc register -> C Vgpr register */


/* shift vector components d0 */

/* check which macro tile need to shift */
v_mov_b32 v1, s[sgprWorkGroup0]                    // 
v_mul_i32_i24 v1, -0x100, v1                       // wg*MT
_v_add_co_u32 v1, vcc, s[sgprSizesFree+0], v1      // wgMT = Size - wg*MT
v_mov_b32 v2, 0x100                                // MT
v_min_u32 v1, v2, v1                               // wgMT = (wgMT < MT) ? wgMT : MT

/* check which wave need to shift */
v_lshrrev_b32 v0, 6, v[vgprSerial]                 // v0 = v[vgprSerial] / 64
v_and_b32 v3, 3, v0                                // v3 = v0 % 4
v_lshrrev_b32 v0, 5, v1                            // v0 = v1 / 32
v_and_b32 v4, 3, v0                                // v4 = v0 % 4
v_cmp_eq_u32 s[54:55], v4, v3                      // wave_id == block_belong_to_wave?
v_cndmask_b32 v1, v2, v1, s[54:55]                 // wgMT = (wave_id == block_belong_to_wave) ? wgMT : MT

/* get id of which glvw block need to shift */
v_mul_i32_i24 v5, -0x20, v3                        // wg * MIB
_v_add_co_u32 v5, vcc, v5, v1                      // wgMT = Size - wg*MIB
v_lshrrev_b32 v5, 4, v5                            // glvw block id

/* dispatch to different shift block for shift */
v_and_b32 v6, 15, v1                               // v6 = v1 % 16
v_cmp_eq_u32 vcc, v6, 0x1                          // wgMT%GLVW == 1
s_cbranch_vccnz label_0031                         // branch to shift d0 r=1
v_cmp_eq_u32 vcc, v6, 0x2                          // wgMT%GLVW == 2
s_cbranch_vccnz label_0036                         // branch to shift d0 r=2
v_cmp_eq_u32 vcc, v6, 0x3                          // wgMT%GLVW == 3
s_cbranch_vccnz label_0041                         // branch to shift d0 r=3
v_cmp_eq_u32 vcc, v6, 0x4                          // wgMT%GLVW == 4
s_cbranch_vccnz label_0046                         // branch to shift d0 r=4
v_cmp_eq_u32 vcc, v6, 0x5                          // wgMT%GLVW == 5
s_cbranch_vccnz label_0051                         // branch to shift d0 r=5
v_cmp_eq_u32 vcc, v6, 0x6                          // wgMT%GLVW == 6
s_cbranch_vccnz label_0056                         // branch to shift d0 r=6
v_cmp_eq_u32 vcc, v6, 0x7                          // wgMT%GLVW == 7
s_cbranch_vccnz label_0061                         // branch to shift d0 r=7
v_cmp_eq_u32 vcc, v6, 0x8                          // wgMT%GLVW == 8
s_cbranch_vccnz label_0066                         // branch to shift d0 r=8
v_cmp_eq_u32 vcc, v6, 0x9                          // wgMT%GLVW == 9
s_cbranch_vccnz label_0071                         // branch to shift d0 r=9
v_cmp_eq_u32 vcc, v6, 0xa                          // wgMT%GLVW == 10
s_cbranch_vccnz label_0076                         // branch to shift d0 r=10
v_cmp_eq_u32 vcc, v6, 0xb                          // wgMT%GLVW == 11
s_cbranch_vccnz label_0081                         // branch to shift d0 r=11
v_cmp_eq_u32 vcc, v6, 0xc                          // wgMT%GLVW == 12
s_cbranch_vccnz label_0086                         // branch to shift d0 r=12
v_cmp_eq_u32 vcc, v6, 0xd                          // wgMT%GLVW == 13
s_cbranch_vccnz label_0091                         // branch to shift d0 r=13
v_cmp_eq_u32 vcc, v6, 0xe                          // wgMT%GLVW == 14
s_cbranch_vccnz label_0096                         // branch to shift d0 r=14
v_cmp_eq_u32 vcc, v6, 0xf                          // wgMT%GLVW == 15
s_cbranch_vccnz label_0101                         // branch to shift d0 r=15
s_branch label_0106                                // no shifting

/******************************************/
/* shift d0 shift=1                       */
/******************************************/
label_0031:
v_cmp_eq_u32 vcc, v5, 0x0                          // 
s_cbranch_vccnz label_0032                         // branch to shift d0 shift1 glvwblk0
v_cmp_eq_u32 vcc, v5, 0x1                          // 
s_cbranch_vccnz label_0033                         // branch to shift d0 shift1 glvwblk1
v_cmp_eq_u32 vcc, v5, 0x8                          // 
s_cbranch_vccnz label_0034                         // branch to shift d0 shift1 glvwblk8
v_cmp_eq_u32 vcc, v5, 0x9                          // 
s_cbranch_vccnz label_0035                         // branch to shift d0 shift1 glvwblk9

/******************************************/
/* shift d0 shift=2                       */
/******************************************/
label_0036:
v_cmp_eq_u32 vcc, v5, 0x0                          // 
s_cbranch_vccnz label_0037                         // branch to shift d0 shift2 glvwblk0
v_cmp_eq_u32 vcc, v5, 0x1                          // 
s_cbranch_vccnz label_0038                         // branch to shift d0 shift2 glvwblk1
v_cmp_eq_u32 vcc, v5, 0x8                          // 
s_cbranch_vccnz label_0039                         // branch to shift d0 shift2 glvwblk8
v_cmp_eq_u32 vcc, v5, 0x9                          // 
s_cbranch_vccnz label_0040                         // branch to shift d0 shift2 glvwblk9

/******************************************/
/* shift d0 shift=3                       */
/******************************************/
label_0041:
v_cmp_eq_u32 vcc, v5, 0x0                          // 
s_cbranch_vccnz label_0042                         // branch to shift d0 shift3 glvwblk0
v_cmp_eq_u32 vcc, v5, 0x1                          // 
s_cbranch_vccnz label_0043                         // branch to shift d0 shift3 glvwblk1
v_cmp_eq_u32 vcc, v5, 0x8                          // 
s_cbranch_vccnz label_0044                         // branch to shift d0 shift3 glvwblk8
v_cmp_eq_u32 vcc, v5, 0x9                          // 
s_cbranch_vccnz label_0045                         // branch to shift d0 shift3 glvwblk9

/******************************************/
/* shift d0 shift=4                       */
/******************************************/
label_0046:
v_cmp_eq_u32 vcc, v5, 0x0                          // 
s_cbranch_vccnz label_0047                         // branch to shift d0 shift4 glvwblk0
v_cmp_eq_u32 vcc, v5, 0x1                          // 
s_cbranch_vccnz label_0048                         // branch to shift d0 shift4 glvwblk1
v_cmp_eq_u32 vcc, v5, 0x8                          // 
s_cbranch_vccnz label_0049                         // branch to shift d0 shift4 glvwblk8
v_cmp_eq_u32 vcc, v5, 0x9                          // 
s_cbranch_vccnz label_0050                         // branch to shift d0 shift4 glvwblk9

/******************************************/
/* shift d0 shift=5                       */
/******************************************/
label_0051:
v_cmp_eq_u32 vcc, v5, 0x0                          // 
s_cbranch_vccnz label_0052                         // branch to shift d0 shift5 glvwblk0
v_cmp_eq_u32 vcc, v5, 0x1                          // 
s_cbranch_vccnz label_0053                         // branch to shift d0 shift5 glvwblk1
v_cmp_eq_u32 vcc, v5, 0x8                          // 
s_cbranch_vccnz label_0054                         // branch to shift d0 shift5 glvwblk8
v_cmp_eq_u32 vcc, v5, 0x9                          // 
s_cbranch_vccnz label_0055                         // branch to shift d0 shift5 glvwblk9

/******************************************/
/* shift d0 shift=6                       */
/******************************************/
label_0056:
v_cmp_eq_u32 vcc, v5, 0x0                          // 
s_cbranch_vccnz label_0057                         // branch to shift d0 shift6 glvwblk0
v_cmp_eq_u32 vcc, v5, 0x1                          // 
s_cbranch_vccnz label_0058                         // branch to shift d0 shift6 glvwblk1
v_cmp_eq_u32 vcc, v5, 0x8                          // 
s_cbranch_vccnz label_0059                         // branch to shift d0 shift6 glvwblk8
v_cmp_eq_u32 vcc, v5, 0x9                          // 
s_cbranch_vccnz label_0060                         // branch to shift d0 shift6 glvwblk9

/******************************************/
/* shift d0 shift=7                       */
/******************************************/
label_0061:
v_cmp_eq_u32 vcc, v5, 0x0                          // 
s_cbranch_vccnz label_0062                         // branch to shift d0 shift7 glvwblk0
v_cmp_eq_u32 vcc, v5, 0x1                          // 
s_cbranch_vccnz label_0063                         // branch to shift d0 shift7 glvwblk1
v_cmp_eq_u32 vcc, v5, 0x8                          // 
s_cbranch_vccnz label_0064                         // branch to shift d0 shift7 glvwblk8
v_cmp_eq_u32 vcc, v5, 0x9                          // 
s_cbranch_vccnz label_0065                         // branch to shift d0 shift7 glvwblk9

/******************************************/
/* shift d0 shift=8                       */
/******************************************/
label_0066:
v_cmp_eq_u32 vcc, v5, 0x0                          // 
s_cbranch_vccnz label_0067                         // branch to shift d0 shift8 glvwblk0
v_cmp_eq_u32 vcc, v5, 0x1                          // 
s_cbranch_vccnz label_0068                         // branch to shift d0 shift8 glvwblk1
v_cmp_eq_u32 vcc, v5, 0x8                          // 
s_cbranch_vccnz label_0069                         // branch to shift d0 shift8 glvwblk8
v_cmp_eq_u32 vcc, v5, 0x9                          // 
s_cbranch_vccnz label_0070                         // branch to shift d0 shift8 glvwblk9

/******************************************/
/* shift d0 shift=9                       */
/******************************************/
label_0071:
v_cmp_eq_u32 vcc, v5, 0x0                          // 
s_cbranch_vccnz label_0072                         // branch to shift d0 shift9 glvwblk0
v_cmp_eq_u32 vcc, v5, 0x1                          // 
s_cbranch_vccnz label_0073                         // branch to shift d0 shift9 glvwblk1
v_cmp_eq_u32 vcc, v5, 0x8                          // 
s_cbranch_vccnz label_0074                         // branch to shift d0 shift9 glvwblk8
v_cmp_eq_u32 vcc, v5, 0x9                          // 
s_cbranch_vccnz label_0075                         // branch to shift d0 shift9 glvwblk9

/******************************************/
/* shift d0 shift=10                      */
/******************************************/
label_0076:
v_cmp_eq_u32 vcc, v5, 0x0                          // 
s_cbranch_vccnz label_0077                         // branch to shift d0 shift10 glvwblk0
v_cmp_eq_u32 vcc, v5, 0x1                          // 
s_cbranch_vccnz label_0078                         // branch to shift d0 shift10 glvwblk1
v_cmp_eq_u32 vcc, v5, 0x8                          // 
s_cbranch_vccnz label_0079                         // branch to shift d0 shift10 glvwblk8
v_cmp_eq_u32 vcc, v5, 0x9                          // 
s_cbranch_vccnz label_0080                         // branch to shift d0 shift10 glvwblk9

/******************************************/
/* shift d0 shift=11                      */
/******************************************/
label_0081:
v_cmp_eq_u32 vcc, v5, 0x0                          // 
s_cbranch_vccnz label_0082                         // branch to shift d0 shift11 glvwblk0
v_cmp_eq_u32 vcc, v5, 0x1                          // 
s_cbranch_vccnz label_0083                         // branch to shift d0 shift11 glvwblk1
v_cmp_eq_u32 vcc, v5, 0x8                          // 
s_cbranch_vccnz label_0084                         // branch to shift d0 shift11 glvwblk8
v_cmp_eq_u32 vcc, v5, 0x9                          // 
s_cbranch_vccnz label_0085                         // branch to shift d0 shift11 glvwblk9

/******************************************/
/* shift d0 shift=12                      */
/******************************************/
label_0086:
v_cmp_eq_u32 vcc, v5, 0x0                          // 
s_cbranch_vccnz label_0087                         // branch to shift d0 shift12 glvwblk0
v_cmp_eq_u32 vcc, v5, 0x1                          // 
s_cbranch_vccnz label_0088                         // branch to shift d0 shift12 glvwblk1
v_cmp_eq_u32 vcc, v5, 0x8                          // 
s_cbranch_vccnz label_0089                         // branch to shift d0 shift12 glvwblk8
v_cmp_eq_u32 vcc, v5, 0x9                          // 
s_cbranch_vccnz label_0090                         // branch to shift d0 shift12 glvwblk9

/******************************************/
/* shift d0 shift=13                      */
/******************************************/
label_0091:
v_cmp_eq_u32 vcc, v5, 0x0                          // 
s_cbranch_vccnz label_0092                         // branch to shift d0 shift13 glvwblk0
v_cmp_eq_u32 vcc, v5, 0x1                          // 
s_cbranch_vccnz label_0093                         // branch to shift d0 shift13 glvwblk1
v_cmp_eq_u32 vcc, v5, 0x8                          // 
s_cbranch_vccnz label_0094                         // branch to shift d0 shift13 glvwblk8
v_cmp_eq_u32 vcc, v5, 0x9                          // 
s_cbranch_vccnz label_0095                         // branch to shift d0 shift13 glvwblk9

/******************************************/
/* shift d0 shift=14                      */
/******************************************/
label_0096:
v_cmp_eq_u32 vcc, v5, 0x0                          // 
s_cbranch_vccnz label_0097                         // branch to shift d0 shift14 glvwblk0
v_cmp_eq_u32 vcc, v5, 0x1                          // 
s_cbranch_vccnz label_0098                         // branch to shift d0 shift14 glvwblk1
v_cmp_eq_u32 vcc, v5, 0x8                          // 
s_cbranch_vccnz label_0099                         // branch to shift d0 shift14 glvwblk8
v_cmp_eq_u32 vcc, v5, 0x9                          // 
s_cbranch_vccnz label_0100                         // branch to shift d0 shift14 glvwblk9

/******************************************/
/* shift d0 shift=15                      */
/******************************************/
label_0101:
v_cmp_eq_u32 vcc, v5, 0x0                          // 
s_cbranch_vccnz label_0102                         // branch to shift d0 shift15 glvwblk0
v_cmp_eq_u32 vcc, v5, 0x1                          // 
s_cbranch_vccnz label_0103                         // branch to shift d0 shift15 glvwblk1
v_cmp_eq_u32 vcc, v5, 0x8                          // 
s_cbranch_vccnz label_0104                         // branch to shift d0 shift15 glvwblk8
v_cmp_eq_u32 vcc, v5, 0x9                          // 
s_cbranch_vccnz label_0105                         // branch to shift d0 shift15 glvwblk9

/******************************************/
/* Tony Reg 8-23                          */
/******************************************/

/******************************************/
/* shift d0 shift=1 glvwblk=0             */
/******************************************/
label_0032:
v_and_b32 v6, 63, v[vgprSerial]                    // permute register between threads
v_lshlrev_b32 v6, 0x2, v6                          // permute register between threads
v_lshrrev_b32 v0, 5, v[vgprSerial]                 // v0 = v[vgprSerial] / 32
v_and_b32 v7, 1, v0                                // v7 = v0 % 2
v_accvgpr_read_b32 v8, acc7                        // 
v_accvgpr_read_b32 v12, acc39                      // 
v_accvgpr_read_b32 v16, acc71                      // 
v_accvgpr_read_b32 v20, acc103                     // 
v_accvgpr_read_b32 v24, acc135                     // 
v_accvgpr_read_b32 v28, acc167                     // 
v_accvgpr_read_b32 v32, acc199                     // 
v_accvgpr_read_b32 v36, acc231                     // 
s_nop 1                                            // v_accvgpr read vgpr after write vgpr: 2 wait states
ds_bpermute_b32 v8, v6, v8, offset:128             // permute edge values
ds_bpermute_b32 v12, v6, v12, offset:128           // permute edge values
ds_bpermute_b32 v16, v6, v16, offset:128           // permute edge values
	;; [unrolled: 1-line block ×7, first 2 shown]
s_waitcnt lgkmcnt(0)                               // wait for swizzle operation
s_mov_b32 s54, 0                                   // which thread need to shfit in this block
_v_cmpx_eq_u32 s[54:55], v7, s54                   // is thread in edge glvw region
s_nop 3                                            // wait for exec mask
v_accvgpr_write_b32 acc0, v8                       // 
v_accvgpr_write_b32 acc32, v12                     // 
v_accvgpr_write_b32 acc64, v16                     // 
v_accvgpr_write_b32 acc96, v20                     // 
v_accvgpr_write_b32 acc128, v24                    // 
v_accvgpr_write_b32 acc160, v28                    // 
v_accvgpr_write_b32 acc192, v32                    // 
v_accvgpr_write_b32 acc224, v36                    // 
s_mov_b64 s[54:55], 0xFFFFFFFFFFFFFFFF             // to restore all threads active
s_or_saveexec_b64 vcc, s[54:55]                    // all threads active
s_nop 3                                            // wait for exec mask
s_branch label_0106                                // done

/******************************************/
/* shift d0 shift=1 glvwblk=1             */
/******************************************/
label_0033:
v_and_b32 v6, 63, v[vgprSerial]                    // permute register between threads
v_lshlrev_b32 v6, 0x2, v6                          // permute register between threads
v_lshrrev_b32 v0, 5, v[vgprSerial]                 // v0 = v[vgprSerial] / 32
v_and_b32 v7, 1, v0                                // v7 = v0 % 2
v_accvgpr_read_b32 v8, acc15                       // 
v_accvgpr_read_b32 v12, acc47                      // 
v_accvgpr_read_b32 v16, acc79                      // 
v_accvgpr_read_b32 v20, acc111                     // 
v_accvgpr_read_b32 v24, acc143                     // 
v_accvgpr_read_b32 v28, acc175                     // 
v_accvgpr_read_b32 v32, acc207                     // 
v_accvgpr_read_b32 v36, acc239                     // 
s_nop 1                                            // v_accvgpr read vgpr after write vgpr: 2 wait states
ds_bpermute_b32 v8, v6, v8, offset:128             // permute edge values
ds_bpermute_b32 v12, v6, v12, offset:128           // permute edge values
ds_bpermute_b32 v16, v6, v16, offset:128           // permute edge values
	;; [unrolled: 1-line block ×7, first 2 shown]
s_waitcnt lgkmcnt(0)                               // wait for swizzle operation
s_mov_b32 s54, 0                                   // which thread need to shfit in this block
_v_cmpx_eq_u32 s[54:55], v7, s54                   // is thread in edge glvw region
s_nop 3                                            // wait for exec mask
v_accvgpr_write_b32 acc8, v8                       // 
v_accvgpr_write_b32 acc40, v12                     // 
v_accvgpr_write_b32 acc72, v16                     // 
v_accvgpr_write_b32 acc104, v20                    // 
v_accvgpr_write_b32 acc136, v24                    // 
v_accvgpr_write_b32 acc168, v28                    // 
v_accvgpr_write_b32 acc200, v32                    // 
v_accvgpr_write_b32 acc232, v36                    // 
s_mov_b64 s[54:55], 0xFFFFFFFFFFFFFFFF             // to restore all threads active
s_or_saveexec_b64 vcc, s[54:55]                    // all threads active
s_nop 3                                            // wait for exec mask
s_branch label_0106                                // done

/******************************************/
/* shift d0 shift=1 glvwblk=0             */
/******************************************/
label_0034:
v_and_b32 v6, 63, v[vgprSerial]                    // permute register between threads
v_lshlrev_b32 v6, 0x2, v6                          // permute register between threads
v_lshrrev_b32 v0, 5, v[vgprSerial]                 // v0 = v[vgprSerial] / 32
v_and_b32 v7, 1, v0                                // v7 = v0 % 2
v_accvgpr_read_b32 v8, acc23                       // 
v_accvgpr_read_b32 v12, acc55                      // 
v_accvgpr_read_b32 v16, acc87                      // 
v_accvgpr_read_b32 v20, acc119                     // 
v_accvgpr_read_b32 v24, acc151                     // 
v_accvgpr_read_b32 v28, acc183                     // 
v_accvgpr_read_b32 v32, acc215                     // 
v_accvgpr_read_b32 v36, acc247                     // 
s_nop 1                                            // v_accvgpr read vgpr after write vgpr: 2 wait states
ds_bpermute_b32 v8, v6, v8, offset:128             // permute edge values
ds_bpermute_b32 v12, v6, v12, offset:128           // permute edge values
ds_bpermute_b32 v16, v6, v16, offset:128           // permute edge values
	;; [unrolled: 1-line block ×7, first 2 shown]
s_waitcnt lgkmcnt(0)                               // wait for swizzle operation
s_mov_b32 s54, 0                                   // which thread need to shfit in this block
_v_cmpx_eq_u32 s[54:55], v7, s54                   // is thread in edge glvw region
s_nop 3                                            // wait for exec mask
v_accvgpr_write_b32 acc16, v8                      // 
v_accvgpr_write_b32 acc48, v12                     // 
v_accvgpr_write_b32 acc80, v16                     // 
v_accvgpr_write_b32 acc112, v20                    // 
v_accvgpr_write_b32 acc144, v24                    // 
v_accvgpr_write_b32 acc176, v28                    // 
v_accvgpr_write_b32 acc208, v32                    // 
v_accvgpr_write_b32 acc240, v36                    // 
s_mov_b64 s[54:55], 0xFFFFFFFFFFFFFFFF             // to restore all threads active
s_or_saveexec_b64 vcc, s[54:55]                    // all threads active
s_nop 3                                            // wait for exec mask
s_branch label_0106                                // done

/******************************************/
/* shift d0 shift=1 glvwblk=1             */
/******************************************/
label_0035:
v_and_b32 v6, 63, v[vgprSerial]                    // permute register between threads
v_lshlrev_b32 v6, 0x2, v6                          // permute register between threads
v_lshrrev_b32 v0, 5, v[vgprSerial]                 // v0 = v[vgprSerial] / 32
v_and_b32 v7, 1, v0                                // v7 = v0 % 2
v_accvgpr_read_b32 v8, acc31                       // 
v_accvgpr_read_b32 v12, acc63                      // 
v_accvgpr_read_b32 v16, acc95                      // 
v_accvgpr_read_b32 v20, acc127                     // 
v_accvgpr_read_b32 v24, acc159                     // 
v_accvgpr_read_b32 v28, acc191                     // 
v_accvgpr_read_b32 v32, acc223                     // 
v_accvgpr_read_b32 v36, acc255                     // 
s_nop 1                                            // v_accvgpr read vgpr after write vgpr: 2 wait states
ds_bpermute_b32 v8, v6, v8, offset:128             // permute edge values
ds_bpermute_b32 v12, v6, v12, offset:128           // permute edge values
ds_bpermute_b32 v16, v6, v16, offset:128           // permute edge values
	;; [unrolled: 1-line block ×7, first 2 shown]
s_waitcnt lgkmcnt(0)                               // wait for swizzle operation
s_mov_b32 s54, 0                                   // which thread need to shfit in this block
_v_cmpx_eq_u32 s[54:55], v7, s54                   // is thread in edge glvw region
s_nop 3                                            // wait for exec mask
v_accvgpr_write_b32 acc24, v8                      // 
v_accvgpr_write_b32 acc56, v12                     // 
v_accvgpr_write_b32 acc88, v16                     // 
v_accvgpr_write_b32 acc120, v20                    // 
v_accvgpr_write_b32 acc152, v24                    // 
v_accvgpr_write_b32 acc184, v28                    // 
v_accvgpr_write_b32 acc216, v32                    // 
v_accvgpr_write_b32 acc248, v36                    // 
s_mov_b64 s[54:55], 0xFFFFFFFFFFFFFFFF             // to restore all threads active
s_or_saveexec_b64 vcc, s[54:55]                    // all threads active
s_nop 3                                            // wait for exec mask
s_branch label_0106                                // done

/******************************************/
/* shift d0 shift=2 glvwblk=0             */
/******************************************/
label_0037:
v_and_b32 v6, 63, v[vgprSerial]                    // permute register between threads
v_lshlrev_b32 v6, 0x2, v6                          // permute register between threads
v_lshrrev_b32 v0, 5, v[vgprSerial]                 // v0 = v[vgprSerial] / 32
v_and_b32 v7, 1, v0                                // v7 = v0 % 2
v_accvgpr_read_b32 v8, acc6                        // 
v_accvgpr_read_b32 v12, acc38                      // 
v_accvgpr_read_b32 v16, acc70                      // 
v_accvgpr_read_b32 v20, acc102                     // 
v_accvgpr_read_b32 v24, acc134                     // 
v_accvgpr_read_b32 v28, acc166                     // 
v_accvgpr_read_b32 v32, acc198                     // 
v_accvgpr_read_b32 v36, acc230                     // 
v_accvgpr_read_b32 v9, acc7                        // 
v_accvgpr_read_b32 v13, acc39                      // 
v_accvgpr_read_b32 v17, acc71                      // 
v_accvgpr_read_b32 v21, acc103                     // 
v_accvgpr_read_b32 v25, acc135                     // 
v_accvgpr_read_b32 v29, acc167                     // 
v_accvgpr_read_b32 v33, acc199                     // 
v_accvgpr_read_b32 v37, acc231                     // 
s_nop 1                                            // v_accvgpr read vgpr after write vgpr: 2 wait states
ds_bpermute_b32 v8, v6, v8, offset:128             // permute edge values
ds_bpermute_b32 v12, v6, v12, offset:128           // permute edge values
ds_bpermute_b32 v16, v6, v16, offset:128           // permute edge values
	;; [unrolled: 1-line block ×7, first 2 shown]
ds_bpermute_b32 v9, v6, v9, offset:128             // permute edge values
ds_bpermute_b32 v13, v6, v13, offset:128           // permute edge values
ds_bpermute_b32 v17, v6, v17, offset:128           // permute edge values
	;; [unrolled: 1-line block ×7, first 2 shown]
s_waitcnt lgkmcnt(0)                               // wait for swizzle operation
s_mov_b32 s54, 0                                   // which thread need to shfit in this block
_v_cmpx_eq_u32 s[54:55], v7, s54                   // is thread in edge glvw region
s_nop 3                                            // wait for exec mask
v_accvgpr_write_b32 acc0, v8                       // 
v_accvgpr_write_b32 acc32, v12                     // 
v_accvgpr_write_b32 acc64, v16                     // 
v_accvgpr_write_b32 acc96, v20                     // 
v_accvgpr_write_b32 acc128, v24                    // 
v_accvgpr_write_b32 acc160, v28                    // 
v_accvgpr_write_b32 acc192, v32                    // 
v_accvgpr_write_b32 acc224, v36                    // 
v_accvgpr_write_b32 acc1, v9                       // 
v_accvgpr_write_b32 acc33, v13                     // 
v_accvgpr_write_b32 acc65, v17                     // 
v_accvgpr_write_b32 acc97, v21                     // 
v_accvgpr_write_b32 acc129, v25                    // 
v_accvgpr_write_b32 acc161, v29                    // 
v_accvgpr_write_b32 acc193, v33                    // 
v_accvgpr_write_b32 acc225, v37                    // 
s_mov_b64 s[54:55], 0xFFFFFFFFFFFFFFFF             // to restore all threads active
s_or_saveexec_b64 vcc, s[54:55]                    // all threads active
s_nop 3                                            // wait for exec mask
s_branch label_0106                                // done

/******************************************/
/* shift d0 shift=2 glvwblk=1             */
/******************************************/
label_0038:
v_and_b32 v6, 63, v[vgprSerial]                    // permute register between threads
v_lshlrev_b32 v6, 0x2, v6                          // permute register between threads
v_lshrrev_b32 v0, 5, v[vgprSerial]                 // v0 = v[vgprSerial] / 32
v_and_b32 v7, 1, v0                                // v7 = v0 % 2
v_accvgpr_read_b32 v8, acc14                       // 
v_accvgpr_read_b32 v12, acc46                      // 
v_accvgpr_read_b32 v16, acc78                      // 
v_accvgpr_read_b32 v20, acc110                     // 
v_accvgpr_read_b32 v24, acc142                     // 
v_accvgpr_read_b32 v28, acc174                     // 
v_accvgpr_read_b32 v32, acc206                     // 
v_accvgpr_read_b32 v36, acc238                     // 
v_accvgpr_read_b32 v9, acc15                       // 
v_accvgpr_read_b32 v13, acc47                      // 
v_accvgpr_read_b32 v17, acc79                      // 
v_accvgpr_read_b32 v21, acc111                     // 
v_accvgpr_read_b32 v25, acc143                     // 
v_accvgpr_read_b32 v29, acc175                     // 
v_accvgpr_read_b32 v33, acc207                     // 
v_accvgpr_read_b32 v37, acc239                     // 
s_nop 1                                            // v_accvgpr read vgpr after write vgpr: 2 wait states
ds_bpermute_b32 v8, v6, v8, offset:128             // permute edge values
ds_bpermute_b32 v12, v6, v12, offset:128           // permute edge values
ds_bpermute_b32 v16, v6, v16, offset:128           // permute edge values
	;; [unrolled: 1-line block ×7, first 2 shown]
ds_bpermute_b32 v9, v6, v9, offset:128             // permute edge values
ds_bpermute_b32 v13, v6, v13, offset:128           // permute edge values
ds_bpermute_b32 v17, v6, v17, offset:128           // permute edge values
	;; [unrolled: 1-line block ×7, first 2 shown]
s_waitcnt lgkmcnt(0)                               // wait for swizzle operation
s_mov_b32 s54, 0                                   // which thread need to shfit in this block
_v_cmpx_eq_u32 s[54:55], v7, s54                   // is thread in edge glvw region
s_nop 3                                            // wait for exec mask
v_accvgpr_write_b32 acc8, v8                       // 
v_accvgpr_write_b32 acc40, v12                     // 
v_accvgpr_write_b32 acc72, v16                     // 
v_accvgpr_write_b32 acc104, v20                    // 
v_accvgpr_write_b32 acc136, v24                    // 
v_accvgpr_write_b32 acc168, v28                    // 
v_accvgpr_write_b32 acc200, v32                    // 
v_accvgpr_write_b32 acc232, v36                    // 
v_accvgpr_write_b32 acc9, v9                       // 
v_accvgpr_write_b32 acc41, v13                     // 
v_accvgpr_write_b32 acc73, v17                     // 
v_accvgpr_write_b32 acc105, v21                    // 
v_accvgpr_write_b32 acc137, v25                    // 
v_accvgpr_write_b32 acc169, v29                    // 
v_accvgpr_write_b32 acc201, v33                    // 
v_accvgpr_write_b32 acc233, v37                    // 
s_mov_b64 s[54:55], 0xFFFFFFFFFFFFFFFF             // to restore all threads active
s_or_saveexec_b64 vcc, s[54:55]                    // all threads active
s_nop 3                                            // wait for exec mask
s_branch label_0106                                // done

/******************************************/
/* shift d0 shift=2 glvwblk=0             */
/******************************************/
label_0039:
v_and_b32 v6, 63, v[vgprSerial]                    // permute register between threads
v_lshlrev_b32 v6, 0x2, v6                          // permute register between threads
v_lshrrev_b32 v0, 5, v[vgprSerial]                 // v0 = v[vgprSerial] / 32
v_and_b32 v7, 1, v0                                // v7 = v0 % 2
v_accvgpr_read_b32 v8, acc22                       // 
v_accvgpr_read_b32 v12, acc54                      // 
v_accvgpr_read_b32 v16, acc86                      // 
v_accvgpr_read_b32 v20, acc118                     // 
v_accvgpr_read_b32 v24, acc150                     // 
v_accvgpr_read_b32 v28, acc182                     // 
v_accvgpr_read_b32 v32, acc214                     // 
v_accvgpr_read_b32 v36, acc246                     // 
v_accvgpr_read_b32 v9, acc23                       // 
v_accvgpr_read_b32 v13, acc55                      // 
v_accvgpr_read_b32 v17, acc87                      // 
v_accvgpr_read_b32 v21, acc119                     // 
v_accvgpr_read_b32 v25, acc151                     // 
v_accvgpr_read_b32 v29, acc183                     // 
v_accvgpr_read_b32 v33, acc215                     // 
v_accvgpr_read_b32 v37, acc247                     // 
s_nop 1                                            // v_accvgpr read vgpr after write vgpr: 2 wait states
ds_bpermute_b32 v8, v6, v8, offset:128             // permute edge values
ds_bpermute_b32 v12, v6, v12, offset:128           // permute edge values
ds_bpermute_b32 v16, v6, v16, offset:128           // permute edge values
	;; [unrolled: 1-line block ×7, first 2 shown]
ds_bpermute_b32 v9, v6, v9, offset:128             // permute edge values
ds_bpermute_b32 v13, v6, v13, offset:128           // permute edge values
ds_bpermute_b32 v17, v6, v17, offset:128           // permute edge values
	;; [unrolled: 1-line block ×7, first 2 shown]
s_waitcnt lgkmcnt(0)                               // wait for swizzle operation
s_mov_b32 s54, 0                                   // which thread need to shfit in this block
_v_cmpx_eq_u32 s[54:55], v7, s54                   // is thread in edge glvw region
s_nop 3                                            // wait for exec mask
v_accvgpr_write_b32 acc16, v8                      // 
v_accvgpr_write_b32 acc48, v12                     // 
v_accvgpr_write_b32 acc80, v16                     // 
v_accvgpr_write_b32 acc112, v20                    // 
v_accvgpr_write_b32 acc144, v24                    // 
v_accvgpr_write_b32 acc176, v28                    // 
v_accvgpr_write_b32 acc208, v32                    // 
v_accvgpr_write_b32 acc240, v36                    // 
v_accvgpr_write_b32 acc17, v9                      // 
v_accvgpr_write_b32 acc49, v13                     // 
v_accvgpr_write_b32 acc81, v17                     // 
v_accvgpr_write_b32 acc113, v21                    // 
v_accvgpr_write_b32 acc145, v25                    // 
v_accvgpr_write_b32 acc177, v29                    // 
v_accvgpr_write_b32 acc209, v33                    // 
v_accvgpr_write_b32 acc241, v37                    // 
s_mov_b64 s[54:55], 0xFFFFFFFFFFFFFFFF             // to restore all threads active
s_or_saveexec_b64 vcc, s[54:55]                    // all threads active
s_nop 3                                            // wait for exec mask
s_branch label_0106                                // done

/******************************************/
/* shift d0 shift=2 glvwblk=1             */
/******************************************/
label_0040:
v_and_b32 v6, 63, v[vgprSerial]                    // permute register between threads
v_lshlrev_b32 v6, 0x2, v6                          // permute register between threads
v_lshrrev_b32 v0, 5, v[vgprSerial]                 // v0 = v[vgprSerial] / 32
v_and_b32 v7, 1, v0                                // v7 = v0 % 2
v_accvgpr_read_b32 v8, acc30                       // 
v_accvgpr_read_b32 v12, acc62                      // 
v_accvgpr_read_b32 v16, acc94                      // 
v_accvgpr_read_b32 v20, acc126                     // 
v_accvgpr_read_b32 v24, acc158                     // 
v_accvgpr_read_b32 v28, acc190                     // 
v_accvgpr_read_b32 v32, acc222                     // 
v_accvgpr_read_b32 v36, acc254                     // 
v_accvgpr_read_b32 v9, acc31                       // 
v_accvgpr_read_b32 v13, acc63                      // 
v_accvgpr_read_b32 v17, acc95                      // 
v_accvgpr_read_b32 v21, acc127                     // 
v_accvgpr_read_b32 v25, acc159                     // 
v_accvgpr_read_b32 v29, acc191                     // 
v_accvgpr_read_b32 v33, acc223                     // 
v_accvgpr_read_b32 v37, acc255                     // 
s_nop 1                                            // v_accvgpr read vgpr after write vgpr: 2 wait states
ds_bpermute_b32 v8, v6, v8, offset:128             // permute edge values
ds_bpermute_b32 v12, v6, v12, offset:128           // permute edge values
ds_bpermute_b32 v16, v6, v16, offset:128           // permute edge values
	;; [unrolled: 1-line block ×7, first 2 shown]
ds_bpermute_b32 v9, v6, v9, offset:128             // permute edge values
ds_bpermute_b32 v13, v6, v13, offset:128           // permute edge values
ds_bpermute_b32 v17, v6, v17, offset:128           // permute edge values
	;; [unrolled: 1-line block ×7, first 2 shown]
s_waitcnt lgkmcnt(0)                               // wait for swizzle operation
s_mov_b32 s54, 0                                   // which thread need to shfit in this block
_v_cmpx_eq_u32 s[54:55], v7, s54                   // is thread in edge glvw region
s_nop 3                                            // wait for exec mask
v_accvgpr_write_b32 acc24, v8                      // 
v_accvgpr_write_b32 acc56, v12                     // 
v_accvgpr_write_b32 acc88, v16                     // 
v_accvgpr_write_b32 acc120, v20                    // 
v_accvgpr_write_b32 acc152, v24                    // 
v_accvgpr_write_b32 acc184, v28                    // 
v_accvgpr_write_b32 acc216, v32                    // 
v_accvgpr_write_b32 acc248, v36                    // 
v_accvgpr_write_b32 acc25, v9                      // 
v_accvgpr_write_b32 acc57, v13                     // 
v_accvgpr_write_b32 acc89, v17                     // 
v_accvgpr_write_b32 acc121, v21                    // 
v_accvgpr_write_b32 acc153, v25                    // 
v_accvgpr_write_b32 acc185, v29                    // 
v_accvgpr_write_b32 acc217, v33                    // 
v_accvgpr_write_b32 acc249, v37                    // 
s_mov_b64 s[54:55], 0xFFFFFFFFFFFFFFFF             // to restore all threads active
s_or_saveexec_b64 vcc, s[54:55]                    // all threads active
s_nop 3                                            // wait for exec mask
s_branch label_0106                                // done

/******************************************/
/* shift d0 shift=3 glvwblk=0             */
/******************************************/
label_0042:
v_and_b32 v6, 63, v[vgprSerial]                    // permute register between threads
v_lshlrev_b32 v6, 0x2, v6                          // permute register between threads
v_lshrrev_b32 v0, 5, v[vgprSerial]                 // v0 = v[vgprSerial] / 32
v_and_b32 v7, 1, v0                                // v7 = v0 % 2
v_accvgpr_read_b32 v8, acc5                        // 
v_accvgpr_read_b32 v12, acc37                      // 
v_accvgpr_read_b32 v16, acc69                      // 
v_accvgpr_read_b32 v20, acc101                     // 
v_accvgpr_read_b32 v24, acc133                     // 
v_accvgpr_read_b32 v28, acc165                     // 
v_accvgpr_read_b32 v32, acc197                     // 
v_accvgpr_read_b32 v36, acc229                     // 
v_accvgpr_read_b32 v9, acc6                        // 
v_accvgpr_read_b32 v13, acc38                      // 
v_accvgpr_read_b32 v17, acc70                      // 
v_accvgpr_read_b32 v21, acc102                     // 
v_accvgpr_read_b32 v25, acc134                     // 
v_accvgpr_read_b32 v29, acc166                     // 
v_accvgpr_read_b32 v33, acc198                     // 
v_accvgpr_read_b32 v37, acc230                     // 
v_accvgpr_read_b32 v10, acc7                       // 
v_accvgpr_read_b32 v14, acc39                      // 
v_accvgpr_read_b32 v18, acc71                      // 
v_accvgpr_read_b32 v22, acc103                     // 
v_accvgpr_read_b32 v26, acc135                     // 
v_accvgpr_read_b32 v30, acc167                     // 
v_accvgpr_read_b32 v34, acc199                     // 
v_accvgpr_read_b32 v38, acc231                     // 
s_nop 1                                            // v_accvgpr read vgpr after write vgpr: 2 wait states
ds_bpermute_b32 v8, v6, v8, offset:128             // permute edge values
ds_bpermute_b32 v12, v6, v12, offset:128           // permute edge values
ds_bpermute_b32 v16, v6, v16, offset:128           // permute edge values
	;; [unrolled: 1-line block ×7, first 2 shown]
ds_bpermute_b32 v9, v6, v9, offset:128             // permute edge values
ds_bpermute_b32 v13, v6, v13, offset:128           // permute edge values
ds_bpermute_b32 v17, v6, v17, offset:128           // permute edge values
ds_bpermute_b32 v21, v6, v21, offset:128           // permute edge values
ds_bpermute_b32 v25, v6, v25, offset:128           // permute edge values
ds_bpermute_b32 v29, v6, v29, offset:128           // permute edge values
ds_bpermute_b32 v33, v6, v33, offset:128           // permute edge values
ds_bpermute_b32 v37, v6, v37, offset:128           // permute edge values
ds_bpermute_b32 v10, v6, v10, offset:128           // permute edge values
ds_bpermute_b32 v14, v6, v14, offset:128           // permute edge values
ds_bpermute_b32 v18, v6, v18, offset:128           // permute edge values
ds_bpermute_b32 v22, v6, v22, offset:128           // permute edge values
ds_bpermute_b32 v26, v6, v26, offset:128           // permute edge values
ds_bpermute_b32 v30, v6, v30, offset:128           // permute edge values
ds_bpermute_b32 v34, v6, v34, offset:128           // permute edge values
ds_bpermute_b32 v38, v6, v38, offset:128           // permute edge values
s_waitcnt lgkmcnt(0)                               // wait for swizzle operation
s_mov_b32 s54, 0                                   // which thread need to shfit in this block
_v_cmpx_eq_u32 s[54:55], v7, s54                   // is thread in edge glvw region
s_nop 3                                            // wait for exec mask
v_accvgpr_write_b32 acc0, v8                       // 
v_accvgpr_write_b32 acc32, v12                     // 
v_accvgpr_write_b32 acc64, v16                     // 
v_accvgpr_write_b32 acc96, v20                     // 
v_accvgpr_write_b32 acc128, v24                    // 
v_accvgpr_write_b32 acc160, v28                    // 
v_accvgpr_write_b32 acc192, v32                    // 
v_accvgpr_write_b32 acc224, v36                    // 
v_accvgpr_write_b32 acc1, v9                       // 
v_accvgpr_write_b32 acc33, v13                     // 
v_accvgpr_write_b32 acc65, v17                     // 
v_accvgpr_write_b32 acc97, v21                     // 
v_accvgpr_write_b32 acc129, v25                    // 
v_accvgpr_write_b32 acc161, v29                    // 
v_accvgpr_write_b32 acc193, v33                    // 
v_accvgpr_write_b32 acc225, v37                    // 
v_accvgpr_write_b32 acc2, v10                      // 
v_accvgpr_write_b32 acc34, v14                     // 
v_accvgpr_write_b32 acc66, v18                     // 
v_accvgpr_write_b32 acc98, v22                     // 
v_accvgpr_write_b32 acc130, v26                    // 
v_accvgpr_write_b32 acc162, v30                    // 
v_accvgpr_write_b32 acc194, v34                    // 
v_accvgpr_write_b32 acc226, v38                    // 
s_mov_b64 s[54:55], 0xFFFFFFFFFFFFFFFF             // to restore all threads active
s_or_saveexec_b64 vcc, s[54:55]                    // all threads active
s_nop 3                                            // wait for exec mask
s_branch label_0106                                // done

/******************************************/
/* shift d0 shift=3 glvwblk=1             */
/******************************************/
label_0043:
v_and_b32 v6, 63, v[vgprSerial]                    // permute register between threads
v_lshlrev_b32 v6, 0x2, v6                          // permute register between threads
v_lshrrev_b32 v0, 5, v[vgprSerial]                 // v0 = v[vgprSerial] / 32
v_and_b32 v7, 1, v0                                // v7 = v0 % 2
v_accvgpr_read_b32 v8, acc13                       // 
v_accvgpr_read_b32 v12, acc45                      // 
v_accvgpr_read_b32 v16, acc77                      // 
v_accvgpr_read_b32 v20, acc109                     // 
v_accvgpr_read_b32 v24, acc141                     // 
v_accvgpr_read_b32 v28, acc173                     // 
v_accvgpr_read_b32 v32, acc205                     // 
v_accvgpr_read_b32 v36, acc237                     // 
v_accvgpr_read_b32 v9, acc14                       // 
v_accvgpr_read_b32 v13, acc46                      // 
v_accvgpr_read_b32 v17, acc78                      // 
v_accvgpr_read_b32 v21, acc110                     // 
v_accvgpr_read_b32 v25, acc142                     // 
v_accvgpr_read_b32 v29, acc174                     // 
v_accvgpr_read_b32 v33, acc206                     // 
v_accvgpr_read_b32 v37, acc238                     // 
v_accvgpr_read_b32 v10, acc15                      // 
v_accvgpr_read_b32 v14, acc47                      // 
v_accvgpr_read_b32 v18, acc79                      // 
v_accvgpr_read_b32 v22, acc111                     // 
v_accvgpr_read_b32 v26, acc143                     // 
v_accvgpr_read_b32 v30, acc175                     // 
v_accvgpr_read_b32 v34, acc207                     // 
v_accvgpr_read_b32 v38, acc239                     // 
s_nop 1                                            // v_accvgpr read vgpr after write vgpr: 2 wait states
ds_bpermute_b32 v8, v6, v8, offset:128             // permute edge values
ds_bpermute_b32 v12, v6, v12, offset:128           // permute edge values
ds_bpermute_b32 v16, v6, v16, offset:128           // permute edge values
	;; [unrolled: 1-line block ×7, first 2 shown]
ds_bpermute_b32 v9, v6, v9, offset:128             // permute edge values
ds_bpermute_b32 v13, v6, v13, offset:128           // permute edge values
ds_bpermute_b32 v17, v6, v17, offset:128           // permute edge values
	;; [unrolled: 1-line block ×15, first 2 shown]
s_waitcnt lgkmcnt(0)                               // wait for swizzle operation
s_mov_b32 s54, 0                                   // which thread need to shfit in this block
_v_cmpx_eq_u32 s[54:55], v7, s54                   // is thread in edge glvw region
s_nop 3                                            // wait for exec mask
v_accvgpr_write_b32 acc8, v8                       // 
v_accvgpr_write_b32 acc40, v12                     // 
v_accvgpr_write_b32 acc72, v16                     // 
v_accvgpr_write_b32 acc104, v20                    // 
v_accvgpr_write_b32 acc136, v24                    // 
v_accvgpr_write_b32 acc168, v28                    // 
v_accvgpr_write_b32 acc200, v32                    // 
v_accvgpr_write_b32 acc232, v36                    // 
v_accvgpr_write_b32 acc9, v9                       // 
v_accvgpr_write_b32 acc41, v13                     // 
v_accvgpr_write_b32 acc73, v17                     // 
v_accvgpr_write_b32 acc105, v21                    // 
v_accvgpr_write_b32 acc137, v25                    // 
v_accvgpr_write_b32 acc169, v29                    // 
v_accvgpr_write_b32 acc201, v33                    // 
v_accvgpr_write_b32 acc233, v37                    // 
v_accvgpr_write_b32 acc10, v10                     // 
v_accvgpr_write_b32 acc42, v14                     // 
v_accvgpr_write_b32 acc74, v18                     // 
v_accvgpr_write_b32 acc106, v22                    // 
v_accvgpr_write_b32 acc138, v26                    // 
v_accvgpr_write_b32 acc170, v30                    // 
v_accvgpr_write_b32 acc202, v34                    // 
v_accvgpr_write_b32 acc234, v38                    // 
s_mov_b64 s[54:55], 0xFFFFFFFFFFFFFFFF             // to restore all threads active
s_or_saveexec_b64 vcc, s[54:55]                    // all threads active
s_nop 3                                            // wait for exec mask
s_branch label_0106                                // done

/******************************************/
/* shift d0 shift=3 glvwblk=0             */
/******************************************/
label_0044:
v_and_b32 v6, 63, v[vgprSerial]                    // permute register between threads
v_lshlrev_b32 v6, 0x2, v6                          // permute register between threads
v_lshrrev_b32 v0, 5, v[vgprSerial]                 // v0 = v[vgprSerial] / 32
v_and_b32 v7, 1, v0                                // v7 = v0 % 2
v_accvgpr_read_b32 v8, acc21                       // 
v_accvgpr_read_b32 v12, acc53                      // 
v_accvgpr_read_b32 v16, acc85                      // 
v_accvgpr_read_b32 v20, acc117                     // 
v_accvgpr_read_b32 v24, acc149                     // 
v_accvgpr_read_b32 v28, acc181                     // 
v_accvgpr_read_b32 v32, acc213                     // 
v_accvgpr_read_b32 v36, acc245                     // 
v_accvgpr_read_b32 v9, acc22                       // 
v_accvgpr_read_b32 v13, acc54                      // 
v_accvgpr_read_b32 v17, acc86                      // 
v_accvgpr_read_b32 v21, acc118                     // 
v_accvgpr_read_b32 v25, acc150                     // 
v_accvgpr_read_b32 v29, acc182                     // 
v_accvgpr_read_b32 v33, acc214                     // 
v_accvgpr_read_b32 v37, acc246                     // 
v_accvgpr_read_b32 v10, acc23                      // 
v_accvgpr_read_b32 v14, acc55                      // 
v_accvgpr_read_b32 v18, acc87                      // 
v_accvgpr_read_b32 v22, acc119                     // 
v_accvgpr_read_b32 v26, acc151                     // 
v_accvgpr_read_b32 v30, acc183                     // 
v_accvgpr_read_b32 v34, acc215                     // 
v_accvgpr_read_b32 v38, acc247                     // 
s_nop 1                                            // v_accvgpr read vgpr after write vgpr: 2 wait states
ds_bpermute_b32 v8, v6, v8, offset:128             // permute edge values
ds_bpermute_b32 v12, v6, v12, offset:128           // permute edge values
ds_bpermute_b32 v16, v6, v16, offset:128           // permute edge values
	;; [unrolled: 1-line block ×7, first 2 shown]
ds_bpermute_b32 v9, v6, v9, offset:128             // permute edge values
ds_bpermute_b32 v13, v6, v13, offset:128           // permute edge values
ds_bpermute_b32 v17, v6, v17, offset:128           // permute edge values
	;; [unrolled: 1-line block ×15, first 2 shown]
s_waitcnt lgkmcnt(0)                               // wait for swizzle operation
s_mov_b32 s54, 0                                   // which thread need to shfit in this block
_v_cmpx_eq_u32 s[54:55], v7, s54                   // is thread in edge glvw region
s_nop 3                                            // wait for exec mask
v_accvgpr_write_b32 acc16, v8                      // 
v_accvgpr_write_b32 acc48, v12                     // 
v_accvgpr_write_b32 acc80, v16                     // 
v_accvgpr_write_b32 acc112, v20                    // 
v_accvgpr_write_b32 acc144, v24                    // 
v_accvgpr_write_b32 acc176, v28                    // 
v_accvgpr_write_b32 acc208, v32                    // 
v_accvgpr_write_b32 acc240, v36                    // 
v_accvgpr_write_b32 acc17, v9                      // 
v_accvgpr_write_b32 acc49, v13                     // 
v_accvgpr_write_b32 acc81, v17                     // 
v_accvgpr_write_b32 acc113, v21                    // 
v_accvgpr_write_b32 acc145, v25                    // 
v_accvgpr_write_b32 acc177, v29                    // 
v_accvgpr_write_b32 acc209, v33                    // 
v_accvgpr_write_b32 acc241, v37                    // 
v_accvgpr_write_b32 acc18, v10                     // 
v_accvgpr_write_b32 acc50, v14                     // 
v_accvgpr_write_b32 acc82, v18                     // 
v_accvgpr_write_b32 acc114, v22                    // 
v_accvgpr_write_b32 acc146, v26                    // 
v_accvgpr_write_b32 acc178, v30                    // 
v_accvgpr_write_b32 acc210, v34                    // 
v_accvgpr_write_b32 acc242, v38                    // 
s_mov_b64 s[54:55], 0xFFFFFFFFFFFFFFFF             // to restore all threads active
s_or_saveexec_b64 vcc, s[54:55]                    // all threads active
s_nop 3                                            // wait for exec mask
s_branch label_0106                                // done

/******************************************/
/* shift d0 shift=3 glvwblk=1             */
/******************************************/
label_0045:
v_and_b32 v6, 63, v[vgprSerial]                    // permute register between threads
v_lshlrev_b32 v6, 0x2, v6                          // permute register between threads
v_lshrrev_b32 v0, 5, v[vgprSerial]                 // v0 = v[vgprSerial] / 32
v_and_b32 v7, 1, v0                                // v7 = v0 % 2
v_accvgpr_read_b32 v8, acc29                       // 
v_accvgpr_read_b32 v12, acc61                      // 
v_accvgpr_read_b32 v16, acc93                      // 
v_accvgpr_read_b32 v20, acc125                     // 
v_accvgpr_read_b32 v24, acc157                     // 
v_accvgpr_read_b32 v28, acc189                     // 
v_accvgpr_read_b32 v32, acc221                     // 
v_accvgpr_read_b32 v36, acc253                     // 
v_accvgpr_read_b32 v9, acc30                       // 
v_accvgpr_read_b32 v13, acc62                      // 
v_accvgpr_read_b32 v17, acc94                      // 
v_accvgpr_read_b32 v21, acc126                     // 
v_accvgpr_read_b32 v25, acc158                     // 
v_accvgpr_read_b32 v29, acc190                     // 
v_accvgpr_read_b32 v33, acc222                     // 
v_accvgpr_read_b32 v37, acc254                     // 
v_accvgpr_read_b32 v10, acc31                      // 
v_accvgpr_read_b32 v14, acc63                      // 
v_accvgpr_read_b32 v18, acc95                      // 
v_accvgpr_read_b32 v22, acc127                     // 
v_accvgpr_read_b32 v26, acc159                     // 
v_accvgpr_read_b32 v30, acc191                     // 
v_accvgpr_read_b32 v34, acc223                     // 
v_accvgpr_read_b32 v38, acc255                     // 
s_nop 1                                            // v_accvgpr read vgpr after write vgpr: 2 wait states
ds_bpermute_b32 v8, v6, v8, offset:128             // permute edge values
ds_bpermute_b32 v12, v6, v12, offset:128           // permute edge values
ds_bpermute_b32 v16, v6, v16, offset:128           // permute edge values
	;; [unrolled: 1-line block ×7, first 2 shown]
ds_bpermute_b32 v9, v6, v9, offset:128             // permute edge values
ds_bpermute_b32 v13, v6, v13, offset:128           // permute edge values
ds_bpermute_b32 v17, v6, v17, offset:128           // permute edge values
	;; [unrolled: 1-line block ×15, first 2 shown]
s_waitcnt lgkmcnt(0)                               // wait for swizzle operation
s_mov_b32 s54, 0                                   // which thread need to shfit in this block
_v_cmpx_eq_u32 s[54:55], v7, s54                   // is thread in edge glvw region
s_nop 3                                            // wait for exec mask
v_accvgpr_write_b32 acc24, v8                      // 
v_accvgpr_write_b32 acc56, v12                     // 
v_accvgpr_write_b32 acc88, v16                     // 
v_accvgpr_write_b32 acc120, v20                    // 
v_accvgpr_write_b32 acc152, v24                    // 
v_accvgpr_write_b32 acc184, v28                    // 
v_accvgpr_write_b32 acc216, v32                    // 
v_accvgpr_write_b32 acc248, v36                    // 
v_accvgpr_write_b32 acc25, v9                      // 
v_accvgpr_write_b32 acc57, v13                     // 
v_accvgpr_write_b32 acc89, v17                     // 
v_accvgpr_write_b32 acc121, v21                    // 
v_accvgpr_write_b32 acc153, v25                    // 
v_accvgpr_write_b32 acc185, v29                    // 
v_accvgpr_write_b32 acc217, v33                    // 
v_accvgpr_write_b32 acc249, v37                    // 
v_accvgpr_write_b32 acc26, v10                     // 
v_accvgpr_write_b32 acc58, v14                     // 
v_accvgpr_write_b32 acc90, v18                     // 
v_accvgpr_write_b32 acc122, v22                    // 
v_accvgpr_write_b32 acc154, v26                    // 
v_accvgpr_write_b32 acc186, v30                    // 
v_accvgpr_write_b32 acc218, v34                    // 
v_accvgpr_write_b32 acc250, v38                    // 
s_mov_b64 s[54:55], 0xFFFFFFFFFFFFFFFF             // to restore all threads active
s_or_saveexec_b64 vcc, s[54:55]                    // all threads active
s_nop 3                                            // wait for exec mask
s_branch label_0106                                // done

/******************************************/
/* shift d0 shift=4 glvwblk=0             */
/******************************************/
label_0047:
v_and_b32 v6, 63, v[vgprSerial]                    // permute register between threads
v_lshlrev_b32 v6, 0x2, v6                          // permute register between threads
v_lshrrev_b32 v0, 5, v[vgprSerial]                 // v0 = v[vgprSerial] / 32
v_and_b32 v7, 1, v0                                // v7 = v0 % 2
v_accvgpr_read_b32 v8, acc4                        // 
v_accvgpr_read_b32 v12, acc36                      // 
v_accvgpr_read_b32 v16, acc68                      // 
v_accvgpr_read_b32 v20, acc100                     // 
v_accvgpr_read_b32 v24, acc132                     // 
v_accvgpr_read_b32 v28, acc164                     // 
v_accvgpr_read_b32 v32, acc196                     // 
v_accvgpr_read_b32 v36, acc228                     // 
v_accvgpr_read_b32 v9, acc5                        // 
v_accvgpr_read_b32 v13, acc37                      // 
v_accvgpr_read_b32 v17, acc69                      // 
v_accvgpr_read_b32 v21, acc101                     // 
v_accvgpr_read_b32 v25, acc133                     // 
v_accvgpr_read_b32 v29, acc165                     // 
v_accvgpr_read_b32 v33, acc197                     // 
v_accvgpr_read_b32 v37, acc229                     // 
v_accvgpr_read_b32 v10, acc6                       // 
v_accvgpr_read_b32 v14, acc38                      // 
v_accvgpr_read_b32 v18, acc70                      // 
v_accvgpr_read_b32 v22, acc102                     // 
v_accvgpr_read_b32 v26, acc134                     // 
v_accvgpr_read_b32 v30, acc166                     // 
v_accvgpr_read_b32 v34, acc198                     // 
v_accvgpr_read_b32 v38, acc230                     // 
v_accvgpr_read_b32 v11, acc7                       // 
v_accvgpr_read_b32 v15, acc39                      // 
v_accvgpr_read_b32 v19, acc71                      // 
v_accvgpr_read_b32 v23, acc103                     // 
v_accvgpr_read_b32 v27, acc135                     // 
v_accvgpr_read_b32 v31, acc167                     // 
v_accvgpr_read_b32 v35, acc199                     // 
v_accvgpr_read_b32 v39, acc231                     // 
s_nop 1                                            // v_accvgpr read vgpr after write vgpr: 2 wait states
ds_bpermute_b32 v8, v6, v8, offset:128             // permute edge values
ds_bpermute_b32 v12, v6, v12, offset:128           // permute edge values
ds_bpermute_b32 v16, v6, v16, offset:128           // permute edge values
	;; [unrolled: 1-line block ×7, first 2 shown]
ds_bpermute_b32 v9, v6, v9, offset:128             // permute edge values
ds_bpermute_b32 v13, v6, v13, offset:128           // permute edge values
ds_bpermute_b32 v17, v6, v17, offset:128           // permute edge values
	;; [unrolled: 1-line block ×23, first 2 shown]
s_waitcnt lgkmcnt(0)                               // wait for swizzle operation
s_mov_b32 s54, 0                                   // which thread need to shfit in this block
_v_cmpx_eq_u32 s[54:55], v7, s54                   // is thread in edge glvw region
s_nop 3                                            // wait for exec mask
v_accvgpr_write_b32 acc0, v8                       // 
v_accvgpr_write_b32 acc32, v12                     // 
v_accvgpr_write_b32 acc64, v16                     // 
v_accvgpr_write_b32 acc96, v20                     // 
v_accvgpr_write_b32 acc128, v24                    // 
v_accvgpr_write_b32 acc160, v28                    // 
v_accvgpr_write_b32 acc192, v32                    // 
v_accvgpr_write_b32 acc224, v36                    // 
v_accvgpr_write_b32 acc1, v9                       // 
v_accvgpr_write_b32 acc33, v13                     // 
v_accvgpr_write_b32 acc65, v17                     // 
v_accvgpr_write_b32 acc97, v21                     // 
v_accvgpr_write_b32 acc129, v25                    // 
v_accvgpr_write_b32 acc161, v29                    // 
v_accvgpr_write_b32 acc193, v33                    // 
v_accvgpr_write_b32 acc225, v37                    // 
v_accvgpr_write_b32 acc2, v10                      // 
v_accvgpr_write_b32 acc34, v14                     // 
v_accvgpr_write_b32 acc66, v18                     // 
v_accvgpr_write_b32 acc98, v22                     // 
v_accvgpr_write_b32 acc130, v26                    // 
v_accvgpr_write_b32 acc162, v30                    // 
v_accvgpr_write_b32 acc194, v34                    // 
v_accvgpr_write_b32 acc226, v38                    // 
v_accvgpr_write_b32 acc3, v11                      // 
v_accvgpr_write_b32 acc35, v15                     // 
v_accvgpr_write_b32 acc67, v19                     // 
v_accvgpr_write_b32 acc99, v23                     // 
v_accvgpr_write_b32 acc131, v27                    // 
v_accvgpr_write_b32 acc163, v31                    // 
v_accvgpr_write_b32 acc195, v35                    // 
v_accvgpr_write_b32 acc227, v39                    // 
s_mov_b64 s[54:55], 0xFFFFFFFFFFFFFFFF             // to restore all threads active
s_or_saveexec_b64 vcc, s[54:55]                    // all threads active
s_nop 3                                            // wait for exec mask
s_branch label_0106                                // done

/******************************************/
/* shift d0 shift=4 glvwblk=1             */
/******************************************/
label_0048:
v_and_b32 v6, 63, v[vgprSerial]                    // permute register between threads
v_lshlrev_b32 v6, 0x2, v6                          // permute register between threads
v_lshrrev_b32 v0, 5, v[vgprSerial]                 // v0 = v[vgprSerial] / 32
v_and_b32 v7, 1, v0                                // v7 = v0 % 2
v_accvgpr_read_b32 v8, acc12                       // 
v_accvgpr_read_b32 v12, acc44                      // 
v_accvgpr_read_b32 v16, acc76                      // 
v_accvgpr_read_b32 v20, acc108                     // 
v_accvgpr_read_b32 v24, acc140                     // 
v_accvgpr_read_b32 v28, acc172                     // 
v_accvgpr_read_b32 v32, acc204                     // 
v_accvgpr_read_b32 v36, acc236                     // 
v_accvgpr_read_b32 v9, acc13                       // 
v_accvgpr_read_b32 v13, acc45                      // 
v_accvgpr_read_b32 v17, acc77                      // 
v_accvgpr_read_b32 v21, acc109                     // 
v_accvgpr_read_b32 v25, acc141                     // 
v_accvgpr_read_b32 v29, acc173                     // 
v_accvgpr_read_b32 v33, acc205                     // 
v_accvgpr_read_b32 v37, acc237                     // 
v_accvgpr_read_b32 v10, acc14                      // 
v_accvgpr_read_b32 v14, acc46                      // 
v_accvgpr_read_b32 v18, acc78                      // 
v_accvgpr_read_b32 v22, acc110                     // 
v_accvgpr_read_b32 v26, acc142                     // 
v_accvgpr_read_b32 v30, acc174                     // 
v_accvgpr_read_b32 v34, acc206                     // 
v_accvgpr_read_b32 v38, acc238                     // 
v_accvgpr_read_b32 v11, acc15                      // 
v_accvgpr_read_b32 v15, acc47                      // 
v_accvgpr_read_b32 v19, acc79                      // 
v_accvgpr_read_b32 v23, acc111                     // 
v_accvgpr_read_b32 v27, acc143                     // 
v_accvgpr_read_b32 v31, acc175                     // 
v_accvgpr_read_b32 v35, acc207                     // 
v_accvgpr_read_b32 v39, acc239                     // 
s_nop 1                                            // v_accvgpr read vgpr after write vgpr: 2 wait states
ds_bpermute_b32 v8, v6, v8, offset:128             // permute edge values
ds_bpermute_b32 v12, v6, v12, offset:128           // permute edge values
ds_bpermute_b32 v16, v6, v16, offset:128           // permute edge values
	;; [unrolled: 1-line block ×7, first 2 shown]
ds_bpermute_b32 v9, v6, v9, offset:128             // permute edge values
ds_bpermute_b32 v13, v6, v13, offset:128           // permute edge values
ds_bpermute_b32 v17, v6, v17, offset:128           // permute edge values
	;; [unrolled: 1-line block ×23, first 2 shown]
s_waitcnt lgkmcnt(0)                               // wait for swizzle operation
s_mov_b32 s54, 0                                   // which thread need to shfit in this block
_v_cmpx_eq_u32 s[54:55], v7, s54                   // is thread in edge glvw region
s_nop 3                                            // wait for exec mask
v_accvgpr_write_b32 acc8, v8                       // 
v_accvgpr_write_b32 acc40, v12                     // 
v_accvgpr_write_b32 acc72, v16                     // 
v_accvgpr_write_b32 acc104, v20                    // 
v_accvgpr_write_b32 acc136, v24                    // 
v_accvgpr_write_b32 acc168, v28                    // 
v_accvgpr_write_b32 acc200, v32                    // 
v_accvgpr_write_b32 acc232, v36                    // 
v_accvgpr_write_b32 acc9, v9                       // 
v_accvgpr_write_b32 acc41, v13                     // 
v_accvgpr_write_b32 acc73, v17                     // 
v_accvgpr_write_b32 acc105, v21                    // 
v_accvgpr_write_b32 acc137, v25                    // 
v_accvgpr_write_b32 acc169, v29                    // 
v_accvgpr_write_b32 acc201, v33                    // 
v_accvgpr_write_b32 acc233, v37                    // 
v_accvgpr_write_b32 acc10, v10                     // 
v_accvgpr_write_b32 acc42, v14                     // 
v_accvgpr_write_b32 acc74, v18                     // 
v_accvgpr_write_b32 acc106, v22                    // 
v_accvgpr_write_b32 acc138, v26                    // 
v_accvgpr_write_b32 acc170, v30                    // 
v_accvgpr_write_b32 acc202, v34                    // 
v_accvgpr_write_b32 acc234, v38                    // 
v_accvgpr_write_b32 acc11, v11                     // 
v_accvgpr_write_b32 acc43, v15                     // 
v_accvgpr_write_b32 acc75, v19                     // 
v_accvgpr_write_b32 acc107, v23                    // 
v_accvgpr_write_b32 acc139, v27                    // 
v_accvgpr_write_b32 acc171, v31                    // 
v_accvgpr_write_b32 acc203, v35                    // 
v_accvgpr_write_b32 acc235, v39                    // 
s_mov_b64 s[54:55], 0xFFFFFFFFFFFFFFFF             // to restore all threads active
s_or_saveexec_b64 vcc, s[54:55]                    // all threads active
s_nop 3                                            // wait for exec mask
s_branch label_0106                                // done

/******************************************/
/* shift d0 shift=4 glvwblk=0             */
/******************************************/
label_0049:
v_and_b32 v6, 63, v[vgprSerial]                    // permute register between threads
v_lshlrev_b32 v6, 0x2, v6                          // permute register between threads
v_lshrrev_b32 v0, 5, v[vgprSerial]                 // v0 = v[vgprSerial] / 32
v_and_b32 v7, 1, v0                                // v7 = v0 % 2
v_accvgpr_read_b32 v8, acc20                       // 
v_accvgpr_read_b32 v12, acc52                      // 
v_accvgpr_read_b32 v16, acc84                      // 
v_accvgpr_read_b32 v20, acc116                     // 
v_accvgpr_read_b32 v24, acc148                     // 
v_accvgpr_read_b32 v28, acc180                     // 
v_accvgpr_read_b32 v32, acc212                     // 
v_accvgpr_read_b32 v36, acc244                     // 
v_accvgpr_read_b32 v9, acc21                       // 
v_accvgpr_read_b32 v13, acc53                      // 
v_accvgpr_read_b32 v17, acc85                      // 
v_accvgpr_read_b32 v21, acc117                     // 
v_accvgpr_read_b32 v25, acc149                     // 
v_accvgpr_read_b32 v29, acc181                     // 
v_accvgpr_read_b32 v33, acc213                     // 
v_accvgpr_read_b32 v37, acc245                     // 
v_accvgpr_read_b32 v10, acc22                      // 
v_accvgpr_read_b32 v14, acc54                      // 
v_accvgpr_read_b32 v18, acc86                      // 
v_accvgpr_read_b32 v22, acc118                     // 
v_accvgpr_read_b32 v26, acc150                     // 
v_accvgpr_read_b32 v30, acc182                     // 
v_accvgpr_read_b32 v34, acc214                     // 
v_accvgpr_read_b32 v38, acc246                     // 
v_accvgpr_read_b32 v11, acc23                      // 
v_accvgpr_read_b32 v15, acc55                      // 
v_accvgpr_read_b32 v19, acc87                      // 
v_accvgpr_read_b32 v23, acc119                     // 
v_accvgpr_read_b32 v27, acc151                     // 
v_accvgpr_read_b32 v31, acc183                     // 
v_accvgpr_read_b32 v35, acc215                     // 
v_accvgpr_read_b32 v39, acc247                     // 
s_nop 1                                            // v_accvgpr read vgpr after write vgpr: 2 wait states
ds_bpermute_b32 v8, v6, v8, offset:128             // permute edge values
ds_bpermute_b32 v12, v6, v12, offset:128           // permute edge values
ds_bpermute_b32 v16, v6, v16, offset:128           // permute edge values
	;; [unrolled: 1-line block ×7, first 2 shown]
ds_bpermute_b32 v9, v6, v9, offset:128             // permute edge values
ds_bpermute_b32 v13, v6, v13, offset:128           // permute edge values
ds_bpermute_b32 v17, v6, v17, offset:128           // permute edge values
	;; [unrolled: 1-line block ×23, first 2 shown]
s_waitcnt lgkmcnt(0)                               // wait for swizzle operation
s_mov_b32 s54, 0                                   // which thread need to shfit in this block
_v_cmpx_eq_u32 s[54:55], v7, s54                   // is thread in edge glvw region
s_nop 3                                            // wait for exec mask
v_accvgpr_write_b32 acc16, v8                      // 
v_accvgpr_write_b32 acc48, v12                     // 
v_accvgpr_write_b32 acc80, v16                     // 
v_accvgpr_write_b32 acc112, v20                    // 
v_accvgpr_write_b32 acc144, v24                    // 
v_accvgpr_write_b32 acc176, v28                    // 
v_accvgpr_write_b32 acc208, v32                    // 
v_accvgpr_write_b32 acc240, v36                    // 
v_accvgpr_write_b32 acc17, v9                      // 
v_accvgpr_write_b32 acc49, v13                     // 
v_accvgpr_write_b32 acc81, v17                     // 
v_accvgpr_write_b32 acc113, v21                    // 
v_accvgpr_write_b32 acc145, v25                    // 
v_accvgpr_write_b32 acc177, v29                    // 
v_accvgpr_write_b32 acc209, v33                    // 
v_accvgpr_write_b32 acc241, v37                    // 
v_accvgpr_write_b32 acc18, v10                     // 
v_accvgpr_write_b32 acc50, v14                     // 
v_accvgpr_write_b32 acc82, v18                     // 
v_accvgpr_write_b32 acc114, v22                    // 
v_accvgpr_write_b32 acc146, v26                    // 
v_accvgpr_write_b32 acc178, v30                    // 
v_accvgpr_write_b32 acc210, v34                    // 
v_accvgpr_write_b32 acc242, v38                    // 
v_accvgpr_write_b32 acc19, v11                     // 
v_accvgpr_write_b32 acc51, v15                     // 
v_accvgpr_write_b32 acc83, v19                     // 
v_accvgpr_write_b32 acc115, v23                    // 
v_accvgpr_write_b32 acc147, v27                    // 
v_accvgpr_write_b32 acc179, v31                    // 
v_accvgpr_write_b32 acc211, v35                    // 
v_accvgpr_write_b32 acc243, v39                    // 
s_mov_b64 s[54:55], 0xFFFFFFFFFFFFFFFF             // to restore all threads active
s_or_saveexec_b64 vcc, s[54:55]                    // all threads active
s_nop 3                                            // wait for exec mask
s_branch label_0106                                // done

/******************************************/
/* shift d0 shift=4 glvwblk=1             */
/******************************************/
label_0050:
v_and_b32 v6, 63, v[vgprSerial]                    // permute register between threads
v_lshlrev_b32 v6, 0x2, v6                          // permute register between threads
v_lshrrev_b32 v0, 5, v[vgprSerial]                 // v0 = v[vgprSerial] / 32
v_and_b32 v7, 1, v0                                // v7 = v0 % 2
v_accvgpr_read_b32 v8, acc28                       // 
v_accvgpr_read_b32 v12, acc60                      // 
v_accvgpr_read_b32 v16, acc92                      // 
v_accvgpr_read_b32 v20, acc124                     // 
v_accvgpr_read_b32 v24, acc156                     // 
v_accvgpr_read_b32 v28, acc188                     // 
v_accvgpr_read_b32 v32, acc220                     // 
v_accvgpr_read_b32 v36, acc252                     // 
v_accvgpr_read_b32 v9, acc29                       // 
v_accvgpr_read_b32 v13, acc61                      // 
v_accvgpr_read_b32 v17, acc93                      // 
v_accvgpr_read_b32 v21, acc125                     // 
v_accvgpr_read_b32 v25, acc157                     // 
v_accvgpr_read_b32 v29, acc189                     // 
v_accvgpr_read_b32 v33, acc221                     // 
v_accvgpr_read_b32 v37, acc253                     // 
v_accvgpr_read_b32 v10, acc30                      // 
v_accvgpr_read_b32 v14, acc62                      // 
v_accvgpr_read_b32 v18, acc94                      // 
v_accvgpr_read_b32 v22, acc126                     // 
v_accvgpr_read_b32 v26, acc158                     // 
v_accvgpr_read_b32 v30, acc190                     // 
v_accvgpr_read_b32 v34, acc222                     // 
v_accvgpr_read_b32 v38, acc254                     // 
v_accvgpr_read_b32 v11, acc31                      // 
v_accvgpr_read_b32 v15, acc63                      // 
v_accvgpr_read_b32 v19, acc95                      // 
v_accvgpr_read_b32 v23, acc127                     // 
v_accvgpr_read_b32 v27, acc159                     // 
v_accvgpr_read_b32 v31, acc191                     // 
v_accvgpr_read_b32 v35, acc223                     // 
v_accvgpr_read_b32 v39, acc255                     // 
s_nop 1                                            // v_accvgpr read vgpr after write vgpr: 2 wait states
ds_bpermute_b32 v8, v6, v8, offset:128             // permute edge values
ds_bpermute_b32 v12, v6, v12, offset:128           // permute edge values
ds_bpermute_b32 v16, v6, v16, offset:128           // permute edge values
	;; [unrolled: 1-line block ×7, first 2 shown]
ds_bpermute_b32 v9, v6, v9, offset:128             // permute edge values
ds_bpermute_b32 v13, v6, v13, offset:128           // permute edge values
ds_bpermute_b32 v17, v6, v17, offset:128           // permute edge values
	;; [unrolled: 1-line block ×23, first 2 shown]
s_waitcnt lgkmcnt(0)                               // wait for swizzle operation
s_mov_b32 s54, 0                                   // which thread need to shfit in this block
_v_cmpx_eq_u32 s[54:55], v7, s54                   // is thread in edge glvw region
s_nop 3                                            // wait for exec mask
v_accvgpr_write_b32 acc24, v8                      // 
v_accvgpr_write_b32 acc56, v12                     // 
v_accvgpr_write_b32 acc88, v16                     // 
v_accvgpr_write_b32 acc120, v20                    // 
v_accvgpr_write_b32 acc152, v24                    // 
v_accvgpr_write_b32 acc184, v28                    // 
v_accvgpr_write_b32 acc216, v32                    // 
v_accvgpr_write_b32 acc248, v36                    // 
v_accvgpr_write_b32 acc25, v9                      // 
v_accvgpr_write_b32 acc57, v13                     // 
v_accvgpr_write_b32 acc89, v17                     // 
v_accvgpr_write_b32 acc121, v21                    // 
v_accvgpr_write_b32 acc153, v25                    // 
v_accvgpr_write_b32 acc185, v29                    // 
v_accvgpr_write_b32 acc217, v33                    // 
v_accvgpr_write_b32 acc249, v37                    // 
v_accvgpr_write_b32 acc26, v10                     // 
v_accvgpr_write_b32 acc58, v14                     // 
v_accvgpr_write_b32 acc90, v18                     // 
v_accvgpr_write_b32 acc122, v22                    // 
v_accvgpr_write_b32 acc154, v26                    // 
v_accvgpr_write_b32 acc186, v30                    // 
v_accvgpr_write_b32 acc218, v34                    // 
v_accvgpr_write_b32 acc250, v38                    // 
v_accvgpr_write_b32 acc27, v11                     // 
v_accvgpr_write_b32 acc59, v15                     // 
v_accvgpr_write_b32 acc91, v19                     // 
v_accvgpr_write_b32 acc123, v23                    // 
v_accvgpr_write_b32 acc155, v27                    // 
v_accvgpr_write_b32 acc187, v31                    // 
v_accvgpr_write_b32 acc219, v35                    // 
v_accvgpr_write_b32 acc251, v39                    // 
s_mov_b64 s[54:55], 0xFFFFFFFFFFFFFFFF             // to restore all threads active
s_or_saveexec_b64 vcc, s[54:55]                    // all threads active
s_nop 3                                            // wait for exec mask
s_branch label_0106                                // done

/******************************************/
/* shift d0 shift=5 glvwblk=0             */
/******************************************/
label_0052:
v_and_b32 v6, 63, v[vgprSerial]                    // permute register between threads
v_lshlrev_b32 v6, 0x2, v6                          // permute register between threads
v_lshrrev_b32 v0, 5, v[vgprSerial]                 // v0 = v[vgprSerial] / 32
v_and_b32 v7, 1, v0                                // v7 = v0 % 2
v_accvgpr_read_b32 v8, acc7                        // 
v_accvgpr_read_b32 v12, acc39                      // 
v_accvgpr_read_b32 v16, acc71                      // 
v_accvgpr_read_b32 v20, acc103                     // 
v_accvgpr_read_b32 v24, acc135                     // 
v_accvgpr_read_b32 v28, acc167                     // 
v_accvgpr_read_b32 v32, acc199                     // 
v_accvgpr_read_b32 v36, acc231                     // 
v_accvgpr_read_b32 v9, acc4                        // 
v_accvgpr_read_b32 v13, acc36                      // 
v_accvgpr_read_b32 v17, acc68                      // 
v_accvgpr_read_b32 v21, acc100                     // 
v_accvgpr_read_b32 v25, acc132                     // 
v_accvgpr_read_b32 v29, acc164                     // 
v_accvgpr_read_b32 v33, acc196                     // 
v_accvgpr_read_b32 v37, acc228                     // 
v_accvgpr_read_b32 v10, acc5                       // 
v_accvgpr_read_b32 v14, acc37                      // 
v_accvgpr_read_b32 v18, acc69                      // 
v_accvgpr_read_b32 v22, acc101                     // 
v_accvgpr_read_b32 v26, acc133                     // 
v_accvgpr_read_b32 v30, acc165                     // 
v_accvgpr_read_b32 v34, acc197                     // 
v_accvgpr_read_b32 v38, acc229                     // 
v_accvgpr_read_b32 v11, acc6                       // 
v_accvgpr_read_b32 v15, acc38                      // 
v_accvgpr_read_b32 v19, acc70                      // 
v_accvgpr_read_b32 v23, acc102                     // 
v_accvgpr_read_b32 v27, acc134                     // 
v_accvgpr_read_b32 v31, acc166                     // 
v_accvgpr_read_b32 v35, acc198                     // 
v_accvgpr_read_b32 v39, acc230                     // 
s_nop 1                                            // v_accvgpr read vgpr after write vgpr: 2 wait states
ds_bpermute_b32 v9, v6, v9, offset:128             // permute edge values
ds_bpermute_b32 v13, v6, v13, offset:128           // permute edge values
ds_bpermute_b32 v17, v6, v17, offset:128           // permute edge values
	;; [unrolled: 1-line block ×23, first 2 shown]
s_waitcnt lgkmcnt(0)                               // wait for swizzle operation
s_mov_b32 s54, 0                                   // which thread need to shfit in this block
_v_cmpx_eq_u32 s[54:55], v7, s54                   // is thread in edge glvw region
s_nop 3                                            // wait for exec mask
v_accvgpr_write_b32 acc0, v8                       // 
v_accvgpr_write_b32 acc32, v12                     // 
v_accvgpr_write_b32 acc64, v16                     // 
v_accvgpr_write_b32 acc96, v20                     // 
v_accvgpr_write_b32 acc128, v24                    // 
v_accvgpr_write_b32 acc160, v28                    // 
v_accvgpr_write_b32 acc192, v32                    // 
v_accvgpr_write_b32 acc224, v36                    // 
v_accvgpr_write_b32 acc1, v9                       // 
v_accvgpr_write_b32 acc33, v13                     // 
v_accvgpr_write_b32 acc65, v17                     // 
v_accvgpr_write_b32 acc97, v21                     // 
v_accvgpr_write_b32 acc129, v25                    // 
v_accvgpr_write_b32 acc161, v29                    // 
v_accvgpr_write_b32 acc193, v33                    // 
v_accvgpr_write_b32 acc225, v37                    // 
v_accvgpr_write_b32 acc2, v10                      // 
v_accvgpr_write_b32 acc34, v14                     // 
v_accvgpr_write_b32 acc66, v18                     // 
v_accvgpr_write_b32 acc98, v22                     // 
v_accvgpr_write_b32 acc130, v26                    // 
v_accvgpr_write_b32 acc162, v30                    // 
v_accvgpr_write_b32 acc194, v34                    // 
v_accvgpr_write_b32 acc226, v38                    // 
v_accvgpr_write_b32 acc3, v11                      // 
v_accvgpr_write_b32 acc35, v15                     // 
v_accvgpr_write_b32 acc67, v19                     // 
v_accvgpr_write_b32 acc99, v23                     // 
v_accvgpr_write_b32 acc131, v27                    // 
v_accvgpr_write_b32 acc163, v31                    // 
v_accvgpr_write_b32 acc195, v35                    // 
v_accvgpr_write_b32 acc227, v39                    // 
s_mov_b64 s[54:55], 0xFFFFFFFFFFFFFFFF             // to restore all threads active
s_or_saveexec_b64 vcc, s[54:55]                    // all threads active
s_nop 3                                            // wait for exec mask
v_accvgpr_read_b32 v8, acc7                        // 
v_accvgpr_read_b32 v12, acc39                      // 
v_accvgpr_read_b32 v16, acc71                      // 
v_accvgpr_read_b32 v20, acc103                     // 
v_accvgpr_read_b32 v24, acc135                     // 
v_accvgpr_read_b32 v28, acc167                     // 
v_accvgpr_read_b32 v32, acc199                     // 
v_accvgpr_read_b32 v36, acc231                     // 
s_nop 1                                            // v_accvgpr read vgpr after write vgpr: 2 wait states
s_mov_b32 s54, 1                                   // which thread need to shfit in this block
_v_cmpx_eq_u32 s[54:55], v7, s54                   // is thread in edge glvw region
s_nop 3                                            // wait for exec mask
v_accvgpr_write_b32 acc0, v8                       // 
v_accvgpr_write_b32 acc32, v12                     // 
v_accvgpr_write_b32 acc64, v16                     // 
v_accvgpr_write_b32 acc96, v20                     // 
v_accvgpr_write_b32 acc128, v24                    // 
v_accvgpr_write_b32 acc160, v28                    // 
v_accvgpr_write_b32 acc192, v32                    // 
v_accvgpr_write_b32 acc224, v36                    // 
s_mov_b64 s[54:55], 0xFFFFFFFFFFFFFFFF             // to restore all threads active
s_or_saveexec_b64 vcc, s[54:55]                    // all threads active
s_nop 3                                            // wait for exec mask
s_branch label_0106                                // done

/******************************************/
/* shift d0 shift=5 glvwblk=1             */
/******************************************/
label_0053:
v_and_b32 v6, 63, v[vgprSerial]                    // permute register between threads
v_lshlrev_b32 v6, 0x2, v6                          // permute register between threads
v_lshrrev_b32 v0, 5, v[vgprSerial]                 // v0 = v[vgprSerial] / 32
v_and_b32 v7, 1, v0                                // v7 = v0 % 2
v_accvgpr_read_b32 v8, acc15                       // 
v_accvgpr_read_b32 v12, acc47                      // 
v_accvgpr_read_b32 v16, acc79                      // 
v_accvgpr_read_b32 v20, acc111                     // 
v_accvgpr_read_b32 v24, acc143                     // 
v_accvgpr_read_b32 v28, acc175                     // 
v_accvgpr_read_b32 v32, acc207                     // 
v_accvgpr_read_b32 v36, acc239                     // 
v_accvgpr_read_b32 v9, acc12                       // 
v_accvgpr_read_b32 v13, acc44                      // 
v_accvgpr_read_b32 v17, acc76                      // 
v_accvgpr_read_b32 v21, acc108                     // 
v_accvgpr_read_b32 v25, acc140                     // 
v_accvgpr_read_b32 v29, acc172                     // 
v_accvgpr_read_b32 v33, acc204                     // 
v_accvgpr_read_b32 v37, acc236                     // 
v_accvgpr_read_b32 v10, acc13                      // 
v_accvgpr_read_b32 v14, acc45                      // 
v_accvgpr_read_b32 v18, acc77                      // 
v_accvgpr_read_b32 v22, acc109                     // 
v_accvgpr_read_b32 v26, acc141                     // 
v_accvgpr_read_b32 v30, acc173                     // 
v_accvgpr_read_b32 v34, acc205                     // 
v_accvgpr_read_b32 v38, acc237                     // 
v_accvgpr_read_b32 v11, acc14                      // 
v_accvgpr_read_b32 v15, acc46                      // 
v_accvgpr_read_b32 v19, acc78                      // 
v_accvgpr_read_b32 v23, acc110                     // 
v_accvgpr_read_b32 v27, acc142                     // 
v_accvgpr_read_b32 v31, acc174                     // 
v_accvgpr_read_b32 v35, acc206                     // 
v_accvgpr_read_b32 v39, acc238                     // 
s_nop 1                                            // v_accvgpr read vgpr after write vgpr: 2 wait states
ds_bpermute_b32 v9, v6, v9, offset:128             // permute edge values
ds_bpermute_b32 v13, v6, v13, offset:128           // permute edge values
ds_bpermute_b32 v17, v6, v17, offset:128           // permute edge values
	;; [unrolled: 1-line block ×23, first 2 shown]
s_waitcnt lgkmcnt(0)                               // wait for swizzle operation
s_mov_b32 s54, 0                                   // which thread need to shfit in this block
_v_cmpx_eq_u32 s[54:55], v7, s54                   // is thread in edge glvw region
s_nop 3                                            // wait for exec mask
v_accvgpr_write_b32 acc8, v8                       // 
v_accvgpr_write_b32 acc40, v12                     // 
v_accvgpr_write_b32 acc72, v16                     // 
v_accvgpr_write_b32 acc104, v20                    // 
v_accvgpr_write_b32 acc136, v24                    // 
v_accvgpr_write_b32 acc168, v28                    // 
v_accvgpr_write_b32 acc200, v32                    // 
v_accvgpr_write_b32 acc232, v36                    // 
v_accvgpr_write_b32 acc9, v9                       // 
v_accvgpr_write_b32 acc41, v13                     // 
v_accvgpr_write_b32 acc73, v17                     // 
v_accvgpr_write_b32 acc105, v21                    // 
v_accvgpr_write_b32 acc137, v25                    // 
v_accvgpr_write_b32 acc169, v29                    // 
v_accvgpr_write_b32 acc201, v33                    // 
v_accvgpr_write_b32 acc233, v37                    // 
v_accvgpr_write_b32 acc10, v10                     // 
v_accvgpr_write_b32 acc42, v14                     // 
v_accvgpr_write_b32 acc74, v18                     // 
v_accvgpr_write_b32 acc106, v22                    // 
v_accvgpr_write_b32 acc138, v26                    // 
v_accvgpr_write_b32 acc170, v30                    // 
v_accvgpr_write_b32 acc202, v34                    // 
v_accvgpr_write_b32 acc234, v38                    // 
v_accvgpr_write_b32 acc11, v11                     // 
v_accvgpr_write_b32 acc43, v15                     // 
v_accvgpr_write_b32 acc75, v19                     // 
v_accvgpr_write_b32 acc107, v23                    // 
v_accvgpr_write_b32 acc139, v27                    // 
v_accvgpr_write_b32 acc171, v31                    // 
v_accvgpr_write_b32 acc203, v35                    // 
v_accvgpr_write_b32 acc235, v39                    // 
s_mov_b64 s[54:55], 0xFFFFFFFFFFFFFFFF             // to restore all threads active
s_or_saveexec_b64 vcc, s[54:55]                    // all threads active
s_nop 3                                            // wait for exec mask
v_accvgpr_read_b32 v8, acc15                       // 
v_accvgpr_read_b32 v12, acc47                      // 
v_accvgpr_read_b32 v16, acc79                      // 
v_accvgpr_read_b32 v20, acc111                     // 
v_accvgpr_read_b32 v24, acc143                     // 
v_accvgpr_read_b32 v28, acc175                     // 
v_accvgpr_read_b32 v32, acc207                     // 
v_accvgpr_read_b32 v36, acc239                     // 
s_nop 1                                            // v_accvgpr read vgpr after write vgpr: 2 wait states
s_mov_b32 s54, 1                                   // which thread need to shfit in this block
_v_cmpx_eq_u32 s[54:55], v7, s54                   // is thread in edge glvw region
s_nop 3                                            // wait for exec mask
v_accvgpr_write_b32 acc8, v8                       // 
v_accvgpr_write_b32 acc40, v12                     // 
v_accvgpr_write_b32 acc72, v16                     // 
v_accvgpr_write_b32 acc104, v20                    // 
v_accvgpr_write_b32 acc136, v24                    // 
v_accvgpr_write_b32 acc168, v28                    // 
v_accvgpr_write_b32 acc200, v32                    // 
v_accvgpr_write_b32 acc232, v36                    // 
s_mov_b64 s[54:55], 0xFFFFFFFFFFFFFFFF             // to restore all threads active
s_or_saveexec_b64 vcc, s[54:55]                    // all threads active
s_nop 3                                            // wait for exec mask
s_branch label_0106                                // done

/******************************************/
/* shift d0 shift=5 glvwblk=0             */
/******************************************/
label_0054:
v_and_b32 v6, 63, v[vgprSerial]                    // permute register between threads
v_lshlrev_b32 v6, 0x2, v6                          // permute register between threads
v_lshrrev_b32 v0, 5, v[vgprSerial]                 // v0 = v[vgprSerial] / 32
v_and_b32 v7, 1, v0                                // v7 = v0 % 2
v_accvgpr_read_b32 v8, acc23                       // 
v_accvgpr_read_b32 v12, acc55                      // 
v_accvgpr_read_b32 v16, acc87                      // 
v_accvgpr_read_b32 v20, acc119                     // 
v_accvgpr_read_b32 v24, acc151                     // 
v_accvgpr_read_b32 v28, acc183                     // 
v_accvgpr_read_b32 v32, acc215                     // 
v_accvgpr_read_b32 v36, acc247                     // 
v_accvgpr_read_b32 v9, acc20                       // 
v_accvgpr_read_b32 v13, acc52                      // 
v_accvgpr_read_b32 v17, acc84                      // 
v_accvgpr_read_b32 v21, acc116                     // 
v_accvgpr_read_b32 v25, acc148                     // 
v_accvgpr_read_b32 v29, acc180                     // 
v_accvgpr_read_b32 v33, acc212                     // 
v_accvgpr_read_b32 v37, acc244                     // 
v_accvgpr_read_b32 v10, acc21                      // 
v_accvgpr_read_b32 v14, acc53                      // 
v_accvgpr_read_b32 v18, acc85                      // 
v_accvgpr_read_b32 v22, acc117                     // 
v_accvgpr_read_b32 v26, acc149                     // 
v_accvgpr_read_b32 v30, acc181                     // 
v_accvgpr_read_b32 v34, acc213                     // 
v_accvgpr_read_b32 v38, acc245                     // 
v_accvgpr_read_b32 v11, acc22                      // 
v_accvgpr_read_b32 v15, acc54                      // 
v_accvgpr_read_b32 v19, acc86                      // 
v_accvgpr_read_b32 v23, acc118                     // 
v_accvgpr_read_b32 v27, acc150                     // 
v_accvgpr_read_b32 v31, acc182                     // 
v_accvgpr_read_b32 v35, acc214                     // 
v_accvgpr_read_b32 v39, acc246                     // 
s_nop 1                                            // v_accvgpr read vgpr after write vgpr: 2 wait states
ds_bpermute_b32 v9, v6, v9, offset:128             // permute edge values
ds_bpermute_b32 v13, v6, v13, offset:128           // permute edge values
ds_bpermute_b32 v17, v6, v17, offset:128           // permute edge values
ds_bpermute_b32 v21, v6, v21, offset:128           // permute edge values
ds_bpermute_b32 v25, v6, v25, offset:128           // permute edge values
ds_bpermute_b32 v29, v6, v29, offset:128           // permute edge values
ds_bpermute_b32 v33, v6, v33, offset:128           // permute edge values
ds_bpermute_b32 v37, v6, v37, offset:128           // permute edge values
ds_bpermute_b32 v10, v6, v10, offset:128           // permute edge values
ds_bpermute_b32 v14, v6, v14, offset:128           // permute edge values
ds_bpermute_b32 v18, v6, v18, offset:128           // permute edge values
ds_bpermute_b32 v22, v6, v22, offset:128           // permute edge values
ds_bpermute_b32 v26, v6, v26, offset:128           // permute edge values
ds_bpermute_b32 v30, v6, v30, offset:128           // permute edge values
ds_bpermute_b32 v34, v6, v34, offset:128           // permute edge values
ds_bpermute_b32 v38, v6, v38, offset:128           // permute edge values
ds_bpermute_b32 v11, v6, v11, offset:128           // permute edge values
ds_bpermute_b32 v15, v6, v15, offset:128           // permute edge values
ds_bpermute_b32 v19, v6, v19, offset:128           // permute edge values
ds_bpermute_b32 v23, v6, v23, offset:128           // permute edge values
ds_bpermute_b32 v27, v6, v27, offset:128           // permute edge values
ds_bpermute_b32 v31, v6, v31, offset:128           // permute edge values
ds_bpermute_b32 v35, v6, v35, offset:128           // permute edge values
ds_bpermute_b32 v39, v6, v39, offset:128           // permute edge values
s_waitcnt lgkmcnt(0)                               // wait for swizzle operation
s_mov_b32 s54, 0                                   // which thread need to shfit in this block
_v_cmpx_eq_u32 s[54:55], v7, s54                   // is thread in edge glvw region
s_nop 3                                            // wait for exec mask
v_accvgpr_write_b32 acc16, v8                      // 
v_accvgpr_write_b32 acc48, v12                     // 
v_accvgpr_write_b32 acc80, v16                     // 
v_accvgpr_write_b32 acc112, v20                    // 
v_accvgpr_write_b32 acc144, v24                    // 
v_accvgpr_write_b32 acc176, v28                    // 
v_accvgpr_write_b32 acc208, v32                    // 
v_accvgpr_write_b32 acc240, v36                    // 
v_accvgpr_write_b32 acc17, v9                      // 
v_accvgpr_write_b32 acc49, v13                     // 
v_accvgpr_write_b32 acc81, v17                     // 
v_accvgpr_write_b32 acc113, v21                    // 
v_accvgpr_write_b32 acc145, v25                    // 
v_accvgpr_write_b32 acc177, v29                    // 
v_accvgpr_write_b32 acc209, v33                    // 
v_accvgpr_write_b32 acc241, v37                    // 
v_accvgpr_write_b32 acc18, v10                     // 
v_accvgpr_write_b32 acc50, v14                     // 
v_accvgpr_write_b32 acc82, v18                     // 
v_accvgpr_write_b32 acc114, v22                    // 
v_accvgpr_write_b32 acc146, v26                    // 
v_accvgpr_write_b32 acc178, v30                    // 
v_accvgpr_write_b32 acc210, v34                    // 
v_accvgpr_write_b32 acc242, v38                    // 
v_accvgpr_write_b32 acc19, v11                     // 
v_accvgpr_write_b32 acc51, v15                     // 
v_accvgpr_write_b32 acc83, v19                     // 
v_accvgpr_write_b32 acc115, v23                    // 
v_accvgpr_write_b32 acc147, v27                    // 
v_accvgpr_write_b32 acc179, v31                    // 
v_accvgpr_write_b32 acc211, v35                    // 
v_accvgpr_write_b32 acc243, v39                    // 
s_mov_b64 s[54:55], 0xFFFFFFFFFFFFFFFF             // to restore all threads active
s_or_saveexec_b64 vcc, s[54:55]                    // all threads active
s_nop 3                                            // wait for exec mask
v_accvgpr_read_b32 v8, acc23                       // 
v_accvgpr_read_b32 v12, acc55                      // 
v_accvgpr_read_b32 v16, acc87                      // 
v_accvgpr_read_b32 v20, acc119                     // 
v_accvgpr_read_b32 v24, acc151                     // 
v_accvgpr_read_b32 v28, acc183                     // 
v_accvgpr_read_b32 v32, acc215                     // 
v_accvgpr_read_b32 v36, acc247                     // 
s_nop 1                                            // v_accvgpr read vgpr after write vgpr: 2 wait states
s_mov_b32 s54, 1                                   // which thread need to shfit in this block
_v_cmpx_eq_u32 s[54:55], v7, s54                   // is thread in edge glvw region
s_nop 3                                            // wait for exec mask
v_accvgpr_write_b32 acc16, v8                      // 
v_accvgpr_write_b32 acc48, v12                     // 
v_accvgpr_write_b32 acc80, v16                     // 
v_accvgpr_write_b32 acc112, v20                    // 
v_accvgpr_write_b32 acc144, v24                    // 
v_accvgpr_write_b32 acc176, v28                    // 
v_accvgpr_write_b32 acc208, v32                    // 
v_accvgpr_write_b32 acc240, v36                    // 
s_mov_b64 s[54:55], 0xFFFFFFFFFFFFFFFF             // to restore all threads active
s_or_saveexec_b64 vcc, s[54:55]                    // all threads active
s_nop 3                                            // wait for exec mask
s_branch label_0106                                // done

/******************************************/
/* shift d0 shift=5 glvwblk=1             */
/******************************************/
label_0055:
v_and_b32 v6, 63, v[vgprSerial]                    // permute register between threads
v_lshlrev_b32 v6, 0x2, v6                          // permute register between threads
v_lshrrev_b32 v0, 5, v[vgprSerial]                 // v0 = v[vgprSerial] / 32
v_and_b32 v7, 1, v0                                // v7 = v0 % 2
v_accvgpr_read_b32 v8, acc31                       // 
v_accvgpr_read_b32 v12, acc63                      // 
v_accvgpr_read_b32 v16, acc95                      // 
v_accvgpr_read_b32 v20, acc127                     // 
v_accvgpr_read_b32 v24, acc159                     // 
v_accvgpr_read_b32 v28, acc191                     // 
v_accvgpr_read_b32 v32, acc223                     // 
v_accvgpr_read_b32 v36, acc255                     // 
v_accvgpr_read_b32 v9, acc28                       // 
v_accvgpr_read_b32 v13, acc60                      // 
v_accvgpr_read_b32 v17, acc92                      // 
v_accvgpr_read_b32 v21, acc124                     // 
v_accvgpr_read_b32 v25, acc156                     // 
v_accvgpr_read_b32 v29, acc188                     // 
v_accvgpr_read_b32 v33, acc220                     // 
v_accvgpr_read_b32 v37, acc252                     // 
v_accvgpr_read_b32 v10, acc29                      // 
v_accvgpr_read_b32 v14, acc61                      // 
v_accvgpr_read_b32 v18, acc93                      // 
v_accvgpr_read_b32 v22, acc125                     // 
v_accvgpr_read_b32 v26, acc157                     // 
v_accvgpr_read_b32 v30, acc189                     // 
v_accvgpr_read_b32 v34, acc221                     // 
v_accvgpr_read_b32 v38, acc253                     // 
v_accvgpr_read_b32 v11, acc30                      // 
v_accvgpr_read_b32 v15, acc62                      // 
v_accvgpr_read_b32 v19, acc94                      // 
v_accvgpr_read_b32 v23, acc126                     // 
v_accvgpr_read_b32 v27, acc158                     // 
v_accvgpr_read_b32 v31, acc190                     // 
v_accvgpr_read_b32 v35, acc222                     // 
v_accvgpr_read_b32 v39, acc254                     // 
s_nop 1                                            // v_accvgpr read vgpr after write vgpr: 2 wait states
ds_bpermute_b32 v9, v6, v9, offset:128             // permute edge values
ds_bpermute_b32 v13, v6, v13, offset:128           // permute edge values
ds_bpermute_b32 v17, v6, v17, offset:128           // permute edge values
ds_bpermute_b32 v21, v6, v21, offset:128           // permute edge values
ds_bpermute_b32 v25, v6, v25, offset:128           // permute edge values
ds_bpermute_b32 v29, v6, v29, offset:128           // permute edge values
ds_bpermute_b32 v33, v6, v33, offset:128           // permute edge values
ds_bpermute_b32 v37, v6, v37, offset:128           // permute edge values
ds_bpermute_b32 v10, v6, v10, offset:128           // permute edge values
ds_bpermute_b32 v14, v6, v14, offset:128           // permute edge values
ds_bpermute_b32 v18, v6, v18, offset:128           // permute edge values
ds_bpermute_b32 v22, v6, v22, offset:128           // permute edge values
ds_bpermute_b32 v26, v6, v26, offset:128           // permute edge values
ds_bpermute_b32 v30, v6, v30, offset:128           // permute edge values
ds_bpermute_b32 v34, v6, v34, offset:128           // permute edge values
ds_bpermute_b32 v38, v6, v38, offset:128           // permute edge values
ds_bpermute_b32 v11, v6, v11, offset:128           // permute edge values
ds_bpermute_b32 v15, v6, v15, offset:128           // permute edge values
ds_bpermute_b32 v19, v6, v19, offset:128           // permute edge values
ds_bpermute_b32 v23, v6, v23, offset:128           // permute edge values
ds_bpermute_b32 v27, v6, v27, offset:128           // permute edge values
ds_bpermute_b32 v31, v6, v31, offset:128           // permute edge values
ds_bpermute_b32 v35, v6, v35, offset:128           // permute edge values
ds_bpermute_b32 v39, v6, v39, offset:128           // permute edge values
s_waitcnt lgkmcnt(0)                               // wait for swizzle operation
s_mov_b32 s54, 0                                   // which thread need to shfit in this block
_v_cmpx_eq_u32 s[54:55], v7, s54                   // is thread in edge glvw region
s_nop 3                                            // wait for exec mask
v_accvgpr_write_b32 acc24, v8                      // 
v_accvgpr_write_b32 acc56, v12                     // 
v_accvgpr_write_b32 acc88, v16                     // 
v_accvgpr_write_b32 acc120, v20                    // 
v_accvgpr_write_b32 acc152, v24                    // 
v_accvgpr_write_b32 acc184, v28                    // 
v_accvgpr_write_b32 acc216, v32                    // 
v_accvgpr_write_b32 acc248, v36                    // 
v_accvgpr_write_b32 acc25, v9                      // 
v_accvgpr_write_b32 acc57, v13                     // 
v_accvgpr_write_b32 acc89, v17                     // 
v_accvgpr_write_b32 acc121, v21                    // 
v_accvgpr_write_b32 acc153, v25                    // 
v_accvgpr_write_b32 acc185, v29                    // 
v_accvgpr_write_b32 acc217, v33                    // 
v_accvgpr_write_b32 acc249, v37                    // 
v_accvgpr_write_b32 acc26, v10                     // 
v_accvgpr_write_b32 acc58, v14                     // 
v_accvgpr_write_b32 acc90, v18                     // 
v_accvgpr_write_b32 acc122, v22                    // 
v_accvgpr_write_b32 acc154, v26                    // 
v_accvgpr_write_b32 acc186, v30                    // 
v_accvgpr_write_b32 acc218, v34                    // 
v_accvgpr_write_b32 acc250, v38                    // 
v_accvgpr_write_b32 acc27, v11                     // 
v_accvgpr_write_b32 acc59, v15                     // 
v_accvgpr_write_b32 acc91, v19                     // 
v_accvgpr_write_b32 acc123, v23                    // 
v_accvgpr_write_b32 acc155, v27                    // 
v_accvgpr_write_b32 acc187, v31                    // 
v_accvgpr_write_b32 acc219, v35                    // 
v_accvgpr_write_b32 acc251, v39                    // 
s_mov_b64 s[54:55], 0xFFFFFFFFFFFFFFFF             // to restore all threads active
s_or_saveexec_b64 vcc, s[54:55]                    // all threads active
s_nop 3                                            // wait for exec mask
v_accvgpr_read_b32 v8, acc31                       // 
v_accvgpr_read_b32 v12, acc63                      // 
v_accvgpr_read_b32 v16, acc95                      // 
v_accvgpr_read_b32 v20, acc127                     // 
v_accvgpr_read_b32 v24, acc159                     // 
v_accvgpr_read_b32 v28, acc191                     // 
v_accvgpr_read_b32 v32, acc223                     // 
v_accvgpr_read_b32 v36, acc255                     // 
s_nop 1                                            // v_accvgpr read vgpr after write vgpr: 2 wait states
s_mov_b32 s54, 1                                   // which thread need to shfit in this block
_v_cmpx_eq_u32 s[54:55], v7, s54                   // is thread in edge glvw region
s_nop 3                                            // wait for exec mask
v_accvgpr_write_b32 acc24, v8                      // 
v_accvgpr_write_b32 acc56, v12                     // 
v_accvgpr_write_b32 acc88, v16                     // 
v_accvgpr_write_b32 acc120, v20                    // 
v_accvgpr_write_b32 acc152, v24                    // 
v_accvgpr_write_b32 acc184, v28                    // 
v_accvgpr_write_b32 acc216, v32                    // 
v_accvgpr_write_b32 acc248, v36                    // 
s_mov_b64 s[54:55], 0xFFFFFFFFFFFFFFFF             // to restore all threads active
s_or_saveexec_b64 vcc, s[54:55]                    // all threads active
s_nop 3                                            // wait for exec mask
s_branch label_0106                                // done

/******************************************/
/* shift d0 shift=6 glvwblk=0             */
/******************************************/
label_0057:
v_and_b32 v6, 63, v[vgprSerial]                    // permute register between threads
v_lshlrev_b32 v6, 0x2, v6                          // permute register between threads
v_lshrrev_b32 v0, 5, v[vgprSerial]                 // v0 = v[vgprSerial] / 32
v_and_b32 v7, 1, v0                                // v7 = v0 % 2
v_accvgpr_read_b32 v8, acc6                        // 
v_accvgpr_read_b32 v12, acc38                      // 
v_accvgpr_read_b32 v16, acc70                      // 
v_accvgpr_read_b32 v20, acc102                     // 
v_accvgpr_read_b32 v24, acc134                     // 
v_accvgpr_read_b32 v28, acc166                     // 
v_accvgpr_read_b32 v32, acc198                     // 
v_accvgpr_read_b32 v36, acc230                     // 
v_accvgpr_read_b32 v9, acc7                        // 
v_accvgpr_read_b32 v13, acc39                      // 
v_accvgpr_read_b32 v17, acc71                      // 
v_accvgpr_read_b32 v21, acc103                     // 
v_accvgpr_read_b32 v25, acc135                     // 
v_accvgpr_read_b32 v29, acc167                     // 
v_accvgpr_read_b32 v33, acc199                     // 
v_accvgpr_read_b32 v37, acc231                     // 
v_accvgpr_read_b32 v10, acc4                       // 
v_accvgpr_read_b32 v14, acc36                      // 
v_accvgpr_read_b32 v18, acc68                      // 
v_accvgpr_read_b32 v22, acc100                     // 
v_accvgpr_read_b32 v26, acc132                     // 
v_accvgpr_read_b32 v30, acc164                     // 
v_accvgpr_read_b32 v34, acc196                     // 
v_accvgpr_read_b32 v38, acc228                     // 
v_accvgpr_read_b32 v11, acc5                       // 
v_accvgpr_read_b32 v15, acc37                      // 
v_accvgpr_read_b32 v19, acc69                      // 
v_accvgpr_read_b32 v23, acc101                     // 
v_accvgpr_read_b32 v27, acc133                     // 
v_accvgpr_read_b32 v31, acc165                     // 
v_accvgpr_read_b32 v35, acc197                     // 
v_accvgpr_read_b32 v39, acc229                     // 
s_nop 1                                            // v_accvgpr read vgpr after write vgpr: 2 wait states
ds_bpermute_b32 v10, v6, v10, offset:128           // permute edge values
ds_bpermute_b32 v14, v6, v14, offset:128           // permute edge values
ds_bpermute_b32 v18, v6, v18, offset:128           // permute edge values
ds_bpermute_b32 v22, v6, v22, offset:128           // permute edge values
ds_bpermute_b32 v26, v6, v26, offset:128           // permute edge values
ds_bpermute_b32 v30, v6, v30, offset:128           // permute edge values
ds_bpermute_b32 v34, v6, v34, offset:128           // permute edge values
ds_bpermute_b32 v38, v6, v38, offset:128           // permute edge values
ds_bpermute_b32 v11, v6, v11, offset:128           // permute edge values
ds_bpermute_b32 v15, v6, v15, offset:128           // permute edge values
ds_bpermute_b32 v19, v6, v19, offset:128           // permute edge values
ds_bpermute_b32 v23, v6, v23, offset:128           // permute edge values
ds_bpermute_b32 v27, v6, v27, offset:128           // permute edge values
ds_bpermute_b32 v31, v6, v31, offset:128           // permute edge values
ds_bpermute_b32 v35, v6, v35, offset:128           // permute edge values
ds_bpermute_b32 v39, v6, v39, offset:128           // permute edge values
s_waitcnt lgkmcnt(0)                               // wait for swizzle operation
s_mov_b32 s54, 0                                   // which thread need to shfit in this block
_v_cmpx_eq_u32 s[54:55], v7, s54                   // is thread in edge glvw region
s_nop 3                                            // wait for exec mask
v_accvgpr_write_b32 acc0, v8                       // 
v_accvgpr_write_b32 acc32, v12                     // 
v_accvgpr_write_b32 acc64, v16                     // 
v_accvgpr_write_b32 acc96, v20                     // 
v_accvgpr_write_b32 acc128, v24                    // 
v_accvgpr_write_b32 acc160, v28                    // 
v_accvgpr_write_b32 acc192, v32                    // 
v_accvgpr_write_b32 acc224, v36                    // 
v_accvgpr_write_b32 acc1, v9                       // 
v_accvgpr_write_b32 acc33, v13                     // 
v_accvgpr_write_b32 acc65, v17                     // 
v_accvgpr_write_b32 acc97, v21                     // 
v_accvgpr_write_b32 acc129, v25                    // 
v_accvgpr_write_b32 acc161, v29                    // 
v_accvgpr_write_b32 acc193, v33                    // 
v_accvgpr_write_b32 acc225, v37                    // 
v_accvgpr_write_b32 acc2, v10                      // 
v_accvgpr_write_b32 acc34, v14                     // 
v_accvgpr_write_b32 acc66, v18                     // 
v_accvgpr_write_b32 acc98, v22                     // 
v_accvgpr_write_b32 acc130, v26                    // 
v_accvgpr_write_b32 acc162, v30                    // 
v_accvgpr_write_b32 acc194, v34                    // 
v_accvgpr_write_b32 acc226, v38                    // 
v_accvgpr_write_b32 acc3, v11                      // 
v_accvgpr_write_b32 acc35, v15                     // 
v_accvgpr_write_b32 acc67, v19                     // 
v_accvgpr_write_b32 acc99, v23                     // 
v_accvgpr_write_b32 acc131, v27                    // 
v_accvgpr_write_b32 acc163, v31                    // 
v_accvgpr_write_b32 acc195, v35                    // 
v_accvgpr_write_b32 acc227, v39                    // 
s_mov_b64 s[54:55], 0xFFFFFFFFFFFFFFFF             // to restore all threads active
s_or_saveexec_b64 vcc, s[54:55]                    // all threads active
s_nop 3                                            // wait for exec mask
v_accvgpr_read_b32 v8, acc6                        // 
v_accvgpr_read_b32 v12, acc38                      // 
v_accvgpr_read_b32 v16, acc70                      // 
v_accvgpr_read_b32 v20, acc102                     // 
v_accvgpr_read_b32 v24, acc134                     // 
v_accvgpr_read_b32 v28, acc166                     // 
v_accvgpr_read_b32 v32, acc198                     // 
v_accvgpr_read_b32 v36, acc230                     // 
v_accvgpr_read_b32 v9, acc7                        // 
v_accvgpr_read_b32 v13, acc39                      // 
v_accvgpr_read_b32 v17, acc71                      // 
v_accvgpr_read_b32 v21, acc103                     // 
v_accvgpr_read_b32 v25, acc135                     // 
v_accvgpr_read_b32 v29, acc167                     // 
v_accvgpr_read_b32 v33, acc199                     // 
v_accvgpr_read_b32 v37, acc231                     // 
s_nop 1                                            // v_accvgpr read vgpr after write vgpr: 2 wait states
s_mov_b32 s54, 1                                   // which thread need to shfit in this block
_v_cmpx_eq_u32 s[54:55], v7, s54                   // is thread in edge glvw region
s_nop 3                                            // wait for exec mask
v_accvgpr_write_b32 acc0, v8                       // 
v_accvgpr_write_b32 acc32, v12                     // 
v_accvgpr_write_b32 acc64, v16                     // 
v_accvgpr_write_b32 acc96, v20                     // 
v_accvgpr_write_b32 acc128, v24                    // 
v_accvgpr_write_b32 acc160, v28                    // 
v_accvgpr_write_b32 acc192, v32                    // 
v_accvgpr_write_b32 acc224, v36                    // 
v_accvgpr_write_b32 acc1, v9                       // 
v_accvgpr_write_b32 acc33, v13                     // 
v_accvgpr_write_b32 acc65, v17                     // 
v_accvgpr_write_b32 acc97, v21                     // 
v_accvgpr_write_b32 acc129, v25                    // 
v_accvgpr_write_b32 acc161, v29                    // 
v_accvgpr_write_b32 acc193, v33                    // 
v_accvgpr_write_b32 acc225, v37                    // 
s_mov_b64 s[54:55], 0xFFFFFFFFFFFFFFFF             // to restore all threads active
s_or_saveexec_b64 vcc, s[54:55]                    // all threads active
s_nop 3                                            // wait for exec mask
s_branch label_0106                                // done

/******************************************/
/* shift d0 shift=6 glvwblk=1             */
/******************************************/
label_0058:
v_and_b32 v6, 63, v[vgprSerial]                    // permute register between threads
v_lshlrev_b32 v6, 0x2, v6                          // permute register between threads
v_lshrrev_b32 v0, 5, v[vgprSerial]                 // v0 = v[vgprSerial] / 32
v_and_b32 v7, 1, v0                                // v7 = v0 % 2
v_accvgpr_read_b32 v8, acc14                       // 
v_accvgpr_read_b32 v12, acc46                      // 
v_accvgpr_read_b32 v16, acc78                      // 
v_accvgpr_read_b32 v20, acc110                     // 
v_accvgpr_read_b32 v24, acc142                     // 
v_accvgpr_read_b32 v28, acc174                     // 
v_accvgpr_read_b32 v32, acc206                     // 
v_accvgpr_read_b32 v36, acc238                     // 
v_accvgpr_read_b32 v9, acc15                       // 
v_accvgpr_read_b32 v13, acc47                      // 
v_accvgpr_read_b32 v17, acc79                      // 
v_accvgpr_read_b32 v21, acc111                     // 
v_accvgpr_read_b32 v25, acc143                     // 
v_accvgpr_read_b32 v29, acc175                     // 
v_accvgpr_read_b32 v33, acc207                     // 
v_accvgpr_read_b32 v37, acc239                     // 
v_accvgpr_read_b32 v10, acc12                      // 
v_accvgpr_read_b32 v14, acc44                      // 
v_accvgpr_read_b32 v18, acc76                      // 
v_accvgpr_read_b32 v22, acc108                     // 
v_accvgpr_read_b32 v26, acc140                     // 
v_accvgpr_read_b32 v30, acc172                     // 
v_accvgpr_read_b32 v34, acc204                     // 
v_accvgpr_read_b32 v38, acc236                     // 
v_accvgpr_read_b32 v11, acc13                      // 
v_accvgpr_read_b32 v15, acc45                      // 
v_accvgpr_read_b32 v19, acc77                      // 
v_accvgpr_read_b32 v23, acc109                     // 
v_accvgpr_read_b32 v27, acc141                     // 
v_accvgpr_read_b32 v31, acc173                     // 
v_accvgpr_read_b32 v35, acc205                     // 
v_accvgpr_read_b32 v39, acc237                     // 
s_nop 1                                            // v_accvgpr read vgpr after write vgpr: 2 wait states
ds_bpermute_b32 v10, v6, v10, offset:128           // permute edge values
ds_bpermute_b32 v14, v6, v14, offset:128           // permute edge values
	;; [unrolled: 1-line block ×16, first 2 shown]
s_waitcnt lgkmcnt(0)                               // wait for swizzle operation
s_mov_b32 s54, 0                                   // which thread need to shfit in this block
_v_cmpx_eq_u32 s[54:55], v7, s54                   // is thread in edge glvw region
s_nop 3                                            // wait for exec mask
v_accvgpr_write_b32 acc8, v8                       // 
v_accvgpr_write_b32 acc40, v12                     // 
v_accvgpr_write_b32 acc72, v16                     // 
v_accvgpr_write_b32 acc104, v20                    // 
v_accvgpr_write_b32 acc136, v24                    // 
v_accvgpr_write_b32 acc168, v28                    // 
v_accvgpr_write_b32 acc200, v32                    // 
v_accvgpr_write_b32 acc232, v36                    // 
v_accvgpr_write_b32 acc9, v9                       // 
v_accvgpr_write_b32 acc41, v13                     // 
v_accvgpr_write_b32 acc73, v17                     // 
v_accvgpr_write_b32 acc105, v21                    // 
v_accvgpr_write_b32 acc137, v25                    // 
v_accvgpr_write_b32 acc169, v29                    // 
v_accvgpr_write_b32 acc201, v33                    // 
v_accvgpr_write_b32 acc233, v37                    // 
v_accvgpr_write_b32 acc10, v10                     // 
v_accvgpr_write_b32 acc42, v14                     // 
v_accvgpr_write_b32 acc74, v18                     // 
v_accvgpr_write_b32 acc106, v22                    // 
v_accvgpr_write_b32 acc138, v26                    // 
v_accvgpr_write_b32 acc170, v30                    // 
v_accvgpr_write_b32 acc202, v34                    // 
v_accvgpr_write_b32 acc234, v38                    // 
v_accvgpr_write_b32 acc11, v11                     // 
v_accvgpr_write_b32 acc43, v15                     // 
v_accvgpr_write_b32 acc75, v19                     // 
v_accvgpr_write_b32 acc107, v23                    // 
v_accvgpr_write_b32 acc139, v27                    // 
v_accvgpr_write_b32 acc171, v31                    // 
v_accvgpr_write_b32 acc203, v35                    // 
v_accvgpr_write_b32 acc235, v39                    // 
s_mov_b64 s[54:55], 0xFFFFFFFFFFFFFFFF             // to restore all threads active
s_or_saveexec_b64 vcc, s[54:55]                    // all threads active
s_nop 3                                            // wait for exec mask
v_accvgpr_read_b32 v8, acc14                       // 
v_accvgpr_read_b32 v12, acc46                      // 
v_accvgpr_read_b32 v16, acc78                      // 
v_accvgpr_read_b32 v20, acc110                     // 
v_accvgpr_read_b32 v24, acc142                     // 
v_accvgpr_read_b32 v28, acc174                     // 
v_accvgpr_read_b32 v32, acc206                     // 
v_accvgpr_read_b32 v36, acc238                     // 
v_accvgpr_read_b32 v9, acc15                       // 
v_accvgpr_read_b32 v13, acc47                      // 
v_accvgpr_read_b32 v17, acc79                      // 
v_accvgpr_read_b32 v21, acc111                     // 
v_accvgpr_read_b32 v25, acc143                     // 
v_accvgpr_read_b32 v29, acc175                     // 
v_accvgpr_read_b32 v33, acc207                     // 
v_accvgpr_read_b32 v37, acc239                     // 
s_nop 1                                            // v_accvgpr read vgpr after write vgpr: 2 wait states
s_mov_b32 s54, 1                                   // which thread need to shfit in this block
_v_cmpx_eq_u32 s[54:55], v7, s54                   // is thread in edge glvw region
s_nop 3                                            // wait for exec mask
v_accvgpr_write_b32 acc8, v8                       // 
v_accvgpr_write_b32 acc40, v12                     // 
v_accvgpr_write_b32 acc72, v16                     // 
v_accvgpr_write_b32 acc104, v20                    // 
v_accvgpr_write_b32 acc136, v24                    // 
v_accvgpr_write_b32 acc168, v28                    // 
v_accvgpr_write_b32 acc200, v32                    // 
v_accvgpr_write_b32 acc232, v36                    // 
v_accvgpr_write_b32 acc9, v9                       // 
v_accvgpr_write_b32 acc41, v13                     // 
v_accvgpr_write_b32 acc73, v17                     // 
v_accvgpr_write_b32 acc105, v21                    // 
v_accvgpr_write_b32 acc137, v25                    // 
v_accvgpr_write_b32 acc169, v29                    // 
v_accvgpr_write_b32 acc201, v33                    // 
v_accvgpr_write_b32 acc233, v37                    // 
s_mov_b64 s[54:55], 0xFFFFFFFFFFFFFFFF             // to restore all threads active
s_or_saveexec_b64 vcc, s[54:55]                    // all threads active
s_nop 3                                            // wait for exec mask
s_branch label_0106                                // done

/******************************************/
/* shift d0 shift=6 glvwblk=0             */
/******************************************/
label_0059:
v_and_b32 v6, 63, v[vgprSerial]                    // permute register between threads
v_lshlrev_b32 v6, 0x2, v6                          // permute register between threads
v_lshrrev_b32 v0, 5, v[vgprSerial]                 // v0 = v[vgprSerial] / 32
v_and_b32 v7, 1, v0                                // v7 = v0 % 2
v_accvgpr_read_b32 v8, acc22                       // 
v_accvgpr_read_b32 v12, acc54                      // 
v_accvgpr_read_b32 v16, acc86                      // 
v_accvgpr_read_b32 v20, acc118                     // 
v_accvgpr_read_b32 v24, acc150                     // 
v_accvgpr_read_b32 v28, acc182                     // 
v_accvgpr_read_b32 v32, acc214                     // 
v_accvgpr_read_b32 v36, acc246                     // 
v_accvgpr_read_b32 v9, acc23                       // 
v_accvgpr_read_b32 v13, acc55                      // 
v_accvgpr_read_b32 v17, acc87                      // 
v_accvgpr_read_b32 v21, acc119                     // 
v_accvgpr_read_b32 v25, acc151                     // 
v_accvgpr_read_b32 v29, acc183                     // 
v_accvgpr_read_b32 v33, acc215                     // 
v_accvgpr_read_b32 v37, acc247                     // 
v_accvgpr_read_b32 v10, acc20                      // 
v_accvgpr_read_b32 v14, acc52                      // 
v_accvgpr_read_b32 v18, acc84                      // 
v_accvgpr_read_b32 v22, acc116                     // 
v_accvgpr_read_b32 v26, acc148                     // 
v_accvgpr_read_b32 v30, acc180                     // 
v_accvgpr_read_b32 v34, acc212                     // 
v_accvgpr_read_b32 v38, acc244                     // 
v_accvgpr_read_b32 v11, acc21                      // 
v_accvgpr_read_b32 v15, acc53                      // 
v_accvgpr_read_b32 v19, acc85                      // 
v_accvgpr_read_b32 v23, acc117                     // 
v_accvgpr_read_b32 v27, acc149                     // 
v_accvgpr_read_b32 v31, acc181                     // 
v_accvgpr_read_b32 v35, acc213                     // 
v_accvgpr_read_b32 v39, acc245                     // 
s_nop 1                                            // v_accvgpr read vgpr after write vgpr: 2 wait states
ds_bpermute_b32 v10, v6, v10, offset:128           // permute edge values
ds_bpermute_b32 v14, v6, v14, offset:128           // permute edge values
	;; [unrolled: 1-line block ×16, first 2 shown]
s_waitcnt lgkmcnt(0)                               // wait for swizzle operation
s_mov_b32 s54, 0                                   // which thread need to shfit in this block
_v_cmpx_eq_u32 s[54:55], v7, s54                   // is thread in edge glvw region
s_nop 3                                            // wait for exec mask
v_accvgpr_write_b32 acc16, v8                      // 
v_accvgpr_write_b32 acc48, v12                     // 
v_accvgpr_write_b32 acc80, v16                     // 
v_accvgpr_write_b32 acc112, v20                    // 
v_accvgpr_write_b32 acc144, v24                    // 
v_accvgpr_write_b32 acc176, v28                    // 
v_accvgpr_write_b32 acc208, v32                    // 
v_accvgpr_write_b32 acc240, v36                    // 
v_accvgpr_write_b32 acc17, v9                      // 
v_accvgpr_write_b32 acc49, v13                     // 
v_accvgpr_write_b32 acc81, v17                     // 
v_accvgpr_write_b32 acc113, v21                    // 
v_accvgpr_write_b32 acc145, v25                    // 
v_accvgpr_write_b32 acc177, v29                    // 
v_accvgpr_write_b32 acc209, v33                    // 
v_accvgpr_write_b32 acc241, v37                    // 
v_accvgpr_write_b32 acc18, v10                     // 
v_accvgpr_write_b32 acc50, v14                     // 
v_accvgpr_write_b32 acc82, v18                     // 
v_accvgpr_write_b32 acc114, v22                    // 
v_accvgpr_write_b32 acc146, v26                    // 
v_accvgpr_write_b32 acc178, v30                    // 
v_accvgpr_write_b32 acc210, v34                    // 
v_accvgpr_write_b32 acc242, v38                    // 
v_accvgpr_write_b32 acc19, v11                     // 
v_accvgpr_write_b32 acc51, v15                     // 
v_accvgpr_write_b32 acc83, v19                     // 
v_accvgpr_write_b32 acc115, v23                    // 
v_accvgpr_write_b32 acc147, v27                    // 
v_accvgpr_write_b32 acc179, v31                    // 
v_accvgpr_write_b32 acc211, v35                    // 
v_accvgpr_write_b32 acc243, v39                    // 
s_mov_b64 s[54:55], 0xFFFFFFFFFFFFFFFF             // to restore all threads active
s_or_saveexec_b64 vcc, s[54:55]                    // all threads active
s_nop 3                                            // wait for exec mask
v_accvgpr_read_b32 v8, acc22                       // 
v_accvgpr_read_b32 v12, acc54                      // 
v_accvgpr_read_b32 v16, acc86                      // 
v_accvgpr_read_b32 v20, acc118                     // 
v_accvgpr_read_b32 v24, acc150                     // 
v_accvgpr_read_b32 v28, acc182                     // 
v_accvgpr_read_b32 v32, acc214                     // 
v_accvgpr_read_b32 v36, acc246                     // 
v_accvgpr_read_b32 v9, acc23                       // 
v_accvgpr_read_b32 v13, acc55                      // 
v_accvgpr_read_b32 v17, acc87                      // 
v_accvgpr_read_b32 v21, acc119                     // 
v_accvgpr_read_b32 v25, acc151                     // 
v_accvgpr_read_b32 v29, acc183                     // 
v_accvgpr_read_b32 v33, acc215                     // 
v_accvgpr_read_b32 v37, acc247                     // 
s_nop 1                                            // v_accvgpr read vgpr after write vgpr: 2 wait states
s_mov_b32 s54, 1                                   // which thread need to shfit in this block
_v_cmpx_eq_u32 s[54:55], v7, s54                   // is thread in edge glvw region
s_nop 3                                            // wait for exec mask
v_accvgpr_write_b32 acc16, v8                      // 
v_accvgpr_write_b32 acc48, v12                     // 
v_accvgpr_write_b32 acc80, v16                     // 
v_accvgpr_write_b32 acc112, v20                    // 
v_accvgpr_write_b32 acc144, v24                    // 
v_accvgpr_write_b32 acc176, v28                    // 
v_accvgpr_write_b32 acc208, v32                    // 
v_accvgpr_write_b32 acc240, v36                    // 
v_accvgpr_write_b32 acc17, v9                      // 
v_accvgpr_write_b32 acc49, v13                     // 
v_accvgpr_write_b32 acc81, v17                     // 
v_accvgpr_write_b32 acc113, v21                    // 
v_accvgpr_write_b32 acc145, v25                    // 
v_accvgpr_write_b32 acc177, v29                    // 
v_accvgpr_write_b32 acc209, v33                    // 
v_accvgpr_write_b32 acc241, v37                    // 
s_mov_b64 s[54:55], 0xFFFFFFFFFFFFFFFF             // to restore all threads active
s_or_saveexec_b64 vcc, s[54:55]                    // all threads active
s_nop 3                                            // wait for exec mask
s_branch label_0106                                // done

/******************************************/
/* shift d0 shift=6 glvwblk=1             */
/******************************************/
label_0060:
v_and_b32 v6, 63, v[vgprSerial]                    // permute register between threads
v_lshlrev_b32 v6, 0x2, v6                          // permute register between threads
v_lshrrev_b32 v0, 5, v[vgprSerial]                 // v0 = v[vgprSerial] / 32
v_and_b32 v7, 1, v0                                // v7 = v0 % 2
v_accvgpr_read_b32 v8, acc30                       // 
v_accvgpr_read_b32 v12, acc62                      // 
v_accvgpr_read_b32 v16, acc94                      // 
v_accvgpr_read_b32 v20, acc126                     // 
v_accvgpr_read_b32 v24, acc158                     // 
v_accvgpr_read_b32 v28, acc190                     // 
v_accvgpr_read_b32 v32, acc222                     // 
v_accvgpr_read_b32 v36, acc254                     // 
v_accvgpr_read_b32 v9, acc31                       // 
v_accvgpr_read_b32 v13, acc63                      // 
v_accvgpr_read_b32 v17, acc95                      // 
v_accvgpr_read_b32 v21, acc127                     // 
v_accvgpr_read_b32 v25, acc159                     // 
v_accvgpr_read_b32 v29, acc191                     // 
v_accvgpr_read_b32 v33, acc223                     // 
v_accvgpr_read_b32 v37, acc255                     // 
v_accvgpr_read_b32 v10, acc28                      // 
v_accvgpr_read_b32 v14, acc60                      // 
v_accvgpr_read_b32 v18, acc92                      // 
v_accvgpr_read_b32 v22, acc124                     // 
v_accvgpr_read_b32 v26, acc156                     // 
v_accvgpr_read_b32 v30, acc188                     // 
v_accvgpr_read_b32 v34, acc220                     // 
v_accvgpr_read_b32 v38, acc252                     // 
v_accvgpr_read_b32 v11, acc29                      // 
v_accvgpr_read_b32 v15, acc61                      // 
v_accvgpr_read_b32 v19, acc93                      // 
v_accvgpr_read_b32 v23, acc125                     // 
v_accvgpr_read_b32 v27, acc157                     // 
v_accvgpr_read_b32 v31, acc189                     // 
v_accvgpr_read_b32 v35, acc221                     // 
v_accvgpr_read_b32 v39, acc253                     // 
s_nop 1                                            // v_accvgpr read vgpr after write vgpr: 2 wait states
ds_bpermute_b32 v10, v6, v10, offset:128           // permute edge values
ds_bpermute_b32 v14, v6, v14, offset:128           // permute edge values
ds_bpermute_b32 v18, v6, v18, offset:128           // permute edge values
ds_bpermute_b32 v22, v6, v22, offset:128           // permute edge values
ds_bpermute_b32 v26, v6, v26, offset:128           // permute edge values
ds_bpermute_b32 v30, v6, v30, offset:128           // permute edge values
ds_bpermute_b32 v34, v6, v34, offset:128           // permute edge values
ds_bpermute_b32 v38, v6, v38, offset:128           // permute edge values
ds_bpermute_b32 v11, v6, v11, offset:128           // permute edge values
ds_bpermute_b32 v15, v6, v15, offset:128           // permute edge values
ds_bpermute_b32 v19, v6, v19, offset:128           // permute edge values
ds_bpermute_b32 v23, v6, v23, offset:128           // permute edge values
ds_bpermute_b32 v27, v6, v27, offset:128           // permute edge values
ds_bpermute_b32 v31, v6, v31, offset:128           // permute edge values
ds_bpermute_b32 v35, v6, v35, offset:128           // permute edge values
ds_bpermute_b32 v39, v6, v39, offset:128           // permute edge values
s_waitcnt lgkmcnt(0)                               // wait for swizzle operation
s_mov_b32 s54, 0                                   // which thread need to shfit in this block
_v_cmpx_eq_u32 s[54:55], v7, s54                   // is thread in edge glvw region
s_nop 3                                            // wait for exec mask
v_accvgpr_write_b32 acc24, v8                      // 
v_accvgpr_write_b32 acc56, v12                     // 
v_accvgpr_write_b32 acc88, v16                     // 
v_accvgpr_write_b32 acc120, v20                    // 
v_accvgpr_write_b32 acc152, v24                    // 
v_accvgpr_write_b32 acc184, v28                    // 
v_accvgpr_write_b32 acc216, v32                    // 
v_accvgpr_write_b32 acc248, v36                    // 
v_accvgpr_write_b32 acc25, v9                      // 
v_accvgpr_write_b32 acc57, v13                     // 
v_accvgpr_write_b32 acc89, v17                     // 
v_accvgpr_write_b32 acc121, v21                    // 
v_accvgpr_write_b32 acc153, v25                    // 
v_accvgpr_write_b32 acc185, v29                    // 
v_accvgpr_write_b32 acc217, v33                    // 
v_accvgpr_write_b32 acc249, v37                    // 
v_accvgpr_write_b32 acc26, v10                     // 
v_accvgpr_write_b32 acc58, v14                     // 
v_accvgpr_write_b32 acc90, v18                     // 
v_accvgpr_write_b32 acc122, v22                    // 
v_accvgpr_write_b32 acc154, v26                    // 
v_accvgpr_write_b32 acc186, v30                    // 
v_accvgpr_write_b32 acc218, v34                    // 
v_accvgpr_write_b32 acc250, v38                    // 
v_accvgpr_write_b32 acc27, v11                     // 
v_accvgpr_write_b32 acc59, v15                     // 
v_accvgpr_write_b32 acc91, v19                     // 
v_accvgpr_write_b32 acc123, v23                    // 
v_accvgpr_write_b32 acc155, v27                    // 
v_accvgpr_write_b32 acc187, v31                    // 
v_accvgpr_write_b32 acc219, v35                    // 
v_accvgpr_write_b32 acc251, v39                    // 
s_mov_b64 s[54:55], 0xFFFFFFFFFFFFFFFF             // to restore all threads active
s_or_saveexec_b64 vcc, s[54:55]                    // all threads active
s_nop 3                                            // wait for exec mask
v_accvgpr_read_b32 v8, acc30                       // 
v_accvgpr_read_b32 v12, acc62                      // 
v_accvgpr_read_b32 v16, acc94                      // 
v_accvgpr_read_b32 v20, acc126                     // 
v_accvgpr_read_b32 v24, acc158                     // 
v_accvgpr_read_b32 v28, acc190                     // 
v_accvgpr_read_b32 v32, acc222                     // 
v_accvgpr_read_b32 v36, acc254                     // 
v_accvgpr_read_b32 v9, acc31                       // 
v_accvgpr_read_b32 v13, acc63                      // 
v_accvgpr_read_b32 v17, acc95                      // 
v_accvgpr_read_b32 v21, acc127                     // 
v_accvgpr_read_b32 v25, acc159                     // 
v_accvgpr_read_b32 v29, acc191                     // 
v_accvgpr_read_b32 v33, acc223                     // 
v_accvgpr_read_b32 v37, acc255                     // 
s_nop 1                                            // v_accvgpr read vgpr after write vgpr: 2 wait states
s_mov_b32 s54, 1                                   // which thread need to shfit in this block
_v_cmpx_eq_u32 s[54:55], v7, s54                   // is thread in edge glvw region
s_nop 3                                            // wait for exec mask
v_accvgpr_write_b32 acc24, v8                      // 
v_accvgpr_write_b32 acc56, v12                     // 
v_accvgpr_write_b32 acc88, v16                     // 
v_accvgpr_write_b32 acc120, v20                    // 
v_accvgpr_write_b32 acc152, v24                    // 
v_accvgpr_write_b32 acc184, v28                    // 
v_accvgpr_write_b32 acc216, v32                    // 
v_accvgpr_write_b32 acc248, v36                    // 
v_accvgpr_write_b32 acc25, v9                      // 
v_accvgpr_write_b32 acc57, v13                     // 
v_accvgpr_write_b32 acc89, v17                     // 
v_accvgpr_write_b32 acc121, v21                    // 
v_accvgpr_write_b32 acc153, v25                    // 
v_accvgpr_write_b32 acc185, v29                    // 
v_accvgpr_write_b32 acc217, v33                    // 
v_accvgpr_write_b32 acc249, v37                    // 
s_mov_b64 s[54:55], 0xFFFFFFFFFFFFFFFF             // to restore all threads active
s_or_saveexec_b64 vcc, s[54:55]                    // all threads active
s_nop 3                                            // wait for exec mask
s_branch label_0106                                // done

/******************************************/
/* shift d0 shift=7 glvwblk=0             */
/******************************************/
label_0062:
v_and_b32 v6, 63, v[vgprSerial]                    // permute register between threads
v_lshlrev_b32 v6, 0x2, v6                          // permute register between threads
v_lshrrev_b32 v0, 5, v[vgprSerial]                 // v0 = v[vgprSerial] / 32
v_and_b32 v7, 1, v0                                // v7 = v0 % 2
v_accvgpr_read_b32 v8, acc5                        // 
v_accvgpr_read_b32 v12, acc37                      // 
v_accvgpr_read_b32 v16, acc69                      // 
v_accvgpr_read_b32 v20, acc101                     // 
v_accvgpr_read_b32 v24, acc133                     // 
v_accvgpr_read_b32 v28, acc165                     // 
v_accvgpr_read_b32 v32, acc197                     // 
v_accvgpr_read_b32 v36, acc229                     // 
v_accvgpr_read_b32 v9, acc6                        // 
v_accvgpr_read_b32 v13, acc38                      // 
v_accvgpr_read_b32 v17, acc70                      // 
v_accvgpr_read_b32 v21, acc102                     // 
v_accvgpr_read_b32 v25, acc134                     // 
v_accvgpr_read_b32 v29, acc166                     // 
v_accvgpr_read_b32 v33, acc198                     // 
v_accvgpr_read_b32 v37, acc230                     // 
v_accvgpr_read_b32 v10, acc7                       // 
v_accvgpr_read_b32 v14, acc39                      // 
v_accvgpr_read_b32 v18, acc71                      // 
v_accvgpr_read_b32 v22, acc103                     // 
v_accvgpr_read_b32 v26, acc135                     // 
v_accvgpr_read_b32 v30, acc167                     // 
v_accvgpr_read_b32 v34, acc199                     // 
v_accvgpr_read_b32 v38, acc231                     // 
v_accvgpr_read_b32 v11, acc4                       // 
v_accvgpr_read_b32 v15, acc36                      // 
v_accvgpr_read_b32 v19, acc68                      // 
v_accvgpr_read_b32 v23, acc100                     // 
v_accvgpr_read_b32 v27, acc132                     // 
v_accvgpr_read_b32 v31, acc164                     // 
v_accvgpr_read_b32 v35, acc196                     // 
v_accvgpr_read_b32 v39, acc228                     // 
s_nop 1                                            // v_accvgpr read vgpr after write vgpr: 2 wait states
ds_bpermute_b32 v11, v6, v11, offset:128           // permute edge values
ds_bpermute_b32 v15, v6, v15, offset:128           // permute edge values
	;; [unrolled: 1-line block ×8, first 2 shown]
s_waitcnt lgkmcnt(0)                               // wait for swizzle operation
s_mov_b32 s54, 0                                   // which thread need to shfit in this block
_v_cmpx_eq_u32 s[54:55], v7, s54                   // is thread in edge glvw region
s_nop 3                                            // wait for exec mask
v_accvgpr_write_b32 acc0, v8                       // 
v_accvgpr_write_b32 acc32, v12                     // 
v_accvgpr_write_b32 acc64, v16                     // 
v_accvgpr_write_b32 acc96, v20                     // 
v_accvgpr_write_b32 acc128, v24                    // 
v_accvgpr_write_b32 acc160, v28                    // 
v_accvgpr_write_b32 acc192, v32                    // 
v_accvgpr_write_b32 acc224, v36                    // 
v_accvgpr_write_b32 acc1, v9                       // 
v_accvgpr_write_b32 acc33, v13                     // 
v_accvgpr_write_b32 acc65, v17                     // 
v_accvgpr_write_b32 acc97, v21                     // 
v_accvgpr_write_b32 acc129, v25                    // 
v_accvgpr_write_b32 acc161, v29                    // 
v_accvgpr_write_b32 acc193, v33                    // 
v_accvgpr_write_b32 acc225, v37                    // 
v_accvgpr_write_b32 acc2, v10                      // 
v_accvgpr_write_b32 acc34, v14                     // 
v_accvgpr_write_b32 acc66, v18                     // 
v_accvgpr_write_b32 acc98, v22                     // 
v_accvgpr_write_b32 acc130, v26                    // 
v_accvgpr_write_b32 acc162, v30                    // 
v_accvgpr_write_b32 acc194, v34                    // 
v_accvgpr_write_b32 acc226, v38                    // 
v_accvgpr_write_b32 acc3, v11                      // 
v_accvgpr_write_b32 acc35, v15                     // 
v_accvgpr_write_b32 acc67, v19                     // 
v_accvgpr_write_b32 acc99, v23                     // 
v_accvgpr_write_b32 acc131, v27                    // 
v_accvgpr_write_b32 acc163, v31                    // 
v_accvgpr_write_b32 acc195, v35                    // 
v_accvgpr_write_b32 acc227, v39                    // 
s_mov_b64 s[54:55], 0xFFFFFFFFFFFFFFFF             // to restore all threads active
s_or_saveexec_b64 vcc, s[54:55]                    // all threads active
s_nop 3                                            // wait for exec mask
v_accvgpr_read_b32 v8, acc5                        // 
v_accvgpr_read_b32 v12, acc37                      // 
v_accvgpr_read_b32 v16, acc69                      // 
v_accvgpr_read_b32 v20, acc101                     // 
v_accvgpr_read_b32 v24, acc133                     // 
v_accvgpr_read_b32 v28, acc165                     // 
v_accvgpr_read_b32 v32, acc197                     // 
v_accvgpr_read_b32 v36, acc229                     // 
v_accvgpr_read_b32 v9, acc6                        // 
v_accvgpr_read_b32 v13, acc38                      // 
v_accvgpr_read_b32 v17, acc70                      // 
v_accvgpr_read_b32 v21, acc102                     // 
v_accvgpr_read_b32 v25, acc134                     // 
v_accvgpr_read_b32 v29, acc166                     // 
v_accvgpr_read_b32 v33, acc198                     // 
v_accvgpr_read_b32 v37, acc230                     // 
v_accvgpr_read_b32 v10, acc7                       // 
v_accvgpr_read_b32 v14, acc39                      // 
v_accvgpr_read_b32 v18, acc71                      // 
v_accvgpr_read_b32 v22, acc103                     // 
v_accvgpr_read_b32 v26, acc135                     // 
v_accvgpr_read_b32 v30, acc167                     // 
v_accvgpr_read_b32 v34, acc199                     // 
v_accvgpr_read_b32 v38, acc231                     // 
s_nop 1                                            // v_accvgpr read vgpr after write vgpr: 2 wait states
s_mov_b32 s54, 1                                   // which thread need to shfit in this block
_v_cmpx_eq_u32 s[54:55], v7, s54                   // is thread in edge glvw region
s_nop 3                                            // wait for exec mask
v_accvgpr_write_b32 acc0, v8                       // 
v_accvgpr_write_b32 acc32, v12                     // 
v_accvgpr_write_b32 acc64, v16                     // 
v_accvgpr_write_b32 acc96, v20                     // 
v_accvgpr_write_b32 acc128, v24                    // 
v_accvgpr_write_b32 acc160, v28                    // 
v_accvgpr_write_b32 acc192, v32                    // 
v_accvgpr_write_b32 acc224, v36                    // 
v_accvgpr_write_b32 acc1, v9                       // 
v_accvgpr_write_b32 acc33, v13                     // 
v_accvgpr_write_b32 acc65, v17                     // 
v_accvgpr_write_b32 acc97, v21                     // 
v_accvgpr_write_b32 acc129, v25                    // 
v_accvgpr_write_b32 acc161, v29                    // 
v_accvgpr_write_b32 acc193, v33                    // 
v_accvgpr_write_b32 acc225, v37                    // 
v_accvgpr_write_b32 acc2, v10                      // 
v_accvgpr_write_b32 acc34, v14                     // 
v_accvgpr_write_b32 acc66, v18                     // 
v_accvgpr_write_b32 acc98, v22                     // 
v_accvgpr_write_b32 acc130, v26                    // 
v_accvgpr_write_b32 acc162, v30                    // 
v_accvgpr_write_b32 acc194, v34                    // 
v_accvgpr_write_b32 acc226, v38                    // 
s_mov_b64 s[54:55], 0xFFFFFFFFFFFFFFFF             // to restore all threads active
s_or_saveexec_b64 vcc, s[54:55]                    // all threads active
s_nop 3                                            // wait for exec mask
s_branch label_0106                                // done

/******************************************/
/* shift d0 shift=7 glvwblk=1             */
/******************************************/
label_0063:
v_and_b32 v6, 63, v[vgprSerial]                    // permute register between threads
v_lshlrev_b32 v6, 0x2, v6                          // permute register between threads
v_lshrrev_b32 v0, 5, v[vgprSerial]                 // v0 = v[vgprSerial] / 32
v_and_b32 v7, 1, v0                                // v7 = v0 % 2
v_accvgpr_read_b32 v8, acc13                       // 
v_accvgpr_read_b32 v12, acc45                      // 
v_accvgpr_read_b32 v16, acc77                      // 
v_accvgpr_read_b32 v20, acc109                     // 
v_accvgpr_read_b32 v24, acc141                     // 
v_accvgpr_read_b32 v28, acc173                     // 
v_accvgpr_read_b32 v32, acc205                     // 
v_accvgpr_read_b32 v36, acc237                     // 
v_accvgpr_read_b32 v9, acc14                       // 
v_accvgpr_read_b32 v13, acc46                      // 
v_accvgpr_read_b32 v17, acc78                      // 
v_accvgpr_read_b32 v21, acc110                     // 
v_accvgpr_read_b32 v25, acc142                     // 
v_accvgpr_read_b32 v29, acc174                     // 
v_accvgpr_read_b32 v33, acc206                     // 
v_accvgpr_read_b32 v37, acc238                     // 
v_accvgpr_read_b32 v10, acc15                      // 
v_accvgpr_read_b32 v14, acc47                      // 
v_accvgpr_read_b32 v18, acc79                      // 
v_accvgpr_read_b32 v22, acc111                     // 
v_accvgpr_read_b32 v26, acc143                     // 
v_accvgpr_read_b32 v30, acc175                     // 
v_accvgpr_read_b32 v34, acc207                     // 
v_accvgpr_read_b32 v38, acc239                     // 
v_accvgpr_read_b32 v11, acc12                      // 
v_accvgpr_read_b32 v15, acc44                      // 
v_accvgpr_read_b32 v19, acc76                      // 
v_accvgpr_read_b32 v23, acc108                     // 
v_accvgpr_read_b32 v27, acc140                     // 
v_accvgpr_read_b32 v31, acc172                     // 
v_accvgpr_read_b32 v35, acc204                     // 
v_accvgpr_read_b32 v39, acc236                     // 
s_nop 1                                            // v_accvgpr read vgpr after write vgpr: 2 wait states
ds_bpermute_b32 v11, v6, v11, offset:128           // permute edge values
ds_bpermute_b32 v15, v6, v15, offset:128           // permute edge values
	;; [unrolled: 1-line block ×8, first 2 shown]
s_waitcnt lgkmcnt(0)                               // wait for swizzle operation
s_mov_b32 s54, 0                                   // which thread need to shfit in this block
_v_cmpx_eq_u32 s[54:55], v7, s54                   // is thread in edge glvw region
s_nop 3                                            // wait for exec mask
v_accvgpr_write_b32 acc8, v8                       // 
v_accvgpr_write_b32 acc40, v12                     // 
v_accvgpr_write_b32 acc72, v16                     // 
v_accvgpr_write_b32 acc104, v20                    // 
v_accvgpr_write_b32 acc136, v24                    // 
v_accvgpr_write_b32 acc168, v28                    // 
v_accvgpr_write_b32 acc200, v32                    // 
v_accvgpr_write_b32 acc232, v36                    // 
v_accvgpr_write_b32 acc9, v9                       // 
v_accvgpr_write_b32 acc41, v13                     // 
v_accvgpr_write_b32 acc73, v17                     // 
v_accvgpr_write_b32 acc105, v21                    // 
v_accvgpr_write_b32 acc137, v25                    // 
v_accvgpr_write_b32 acc169, v29                    // 
v_accvgpr_write_b32 acc201, v33                    // 
v_accvgpr_write_b32 acc233, v37                    // 
v_accvgpr_write_b32 acc10, v10                     // 
v_accvgpr_write_b32 acc42, v14                     // 
v_accvgpr_write_b32 acc74, v18                     // 
v_accvgpr_write_b32 acc106, v22                    // 
v_accvgpr_write_b32 acc138, v26                    // 
v_accvgpr_write_b32 acc170, v30                    // 
v_accvgpr_write_b32 acc202, v34                    // 
v_accvgpr_write_b32 acc234, v38                    // 
v_accvgpr_write_b32 acc11, v11                     // 
v_accvgpr_write_b32 acc43, v15                     // 
v_accvgpr_write_b32 acc75, v19                     // 
v_accvgpr_write_b32 acc107, v23                    // 
v_accvgpr_write_b32 acc139, v27                    // 
v_accvgpr_write_b32 acc171, v31                    // 
v_accvgpr_write_b32 acc203, v35                    // 
v_accvgpr_write_b32 acc235, v39                    // 
s_mov_b64 s[54:55], 0xFFFFFFFFFFFFFFFF             // to restore all threads active
s_or_saveexec_b64 vcc, s[54:55]                    // all threads active
s_nop 3                                            // wait for exec mask
v_accvgpr_read_b32 v8, acc13                       // 
v_accvgpr_read_b32 v12, acc45                      // 
v_accvgpr_read_b32 v16, acc77                      // 
v_accvgpr_read_b32 v20, acc109                     // 
v_accvgpr_read_b32 v24, acc141                     // 
v_accvgpr_read_b32 v28, acc173                     // 
v_accvgpr_read_b32 v32, acc205                     // 
v_accvgpr_read_b32 v36, acc237                     // 
v_accvgpr_read_b32 v9, acc14                       // 
v_accvgpr_read_b32 v13, acc46                      // 
v_accvgpr_read_b32 v17, acc78                      // 
v_accvgpr_read_b32 v21, acc110                     // 
v_accvgpr_read_b32 v25, acc142                     // 
v_accvgpr_read_b32 v29, acc174                     // 
v_accvgpr_read_b32 v33, acc206                     // 
v_accvgpr_read_b32 v37, acc238                     // 
v_accvgpr_read_b32 v10, acc15                      // 
v_accvgpr_read_b32 v14, acc47                      // 
v_accvgpr_read_b32 v18, acc79                      // 
v_accvgpr_read_b32 v22, acc111                     // 
v_accvgpr_read_b32 v26, acc143                     // 
v_accvgpr_read_b32 v30, acc175                     // 
v_accvgpr_read_b32 v34, acc207                     // 
v_accvgpr_read_b32 v38, acc239                     // 
s_nop 1                                            // v_accvgpr read vgpr after write vgpr: 2 wait states
s_mov_b32 s54, 1                                   // which thread need to shfit in this block
_v_cmpx_eq_u32 s[54:55], v7, s54                   // is thread in edge glvw region
s_nop 3                                            // wait for exec mask
v_accvgpr_write_b32 acc8, v8                       // 
v_accvgpr_write_b32 acc40, v12                     // 
v_accvgpr_write_b32 acc72, v16                     // 
v_accvgpr_write_b32 acc104, v20                    // 
v_accvgpr_write_b32 acc136, v24                    // 
v_accvgpr_write_b32 acc168, v28                    // 
v_accvgpr_write_b32 acc200, v32                    // 
v_accvgpr_write_b32 acc232, v36                    // 
v_accvgpr_write_b32 acc9, v9                       // 
v_accvgpr_write_b32 acc41, v13                     // 
v_accvgpr_write_b32 acc73, v17                     // 
v_accvgpr_write_b32 acc105, v21                    // 
v_accvgpr_write_b32 acc137, v25                    // 
v_accvgpr_write_b32 acc169, v29                    // 
v_accvgpr_write_b32 acc201, v33                    // 
v_accvgpr_write_b32 acc233, v37                    // 
v_accvgpr_write_b32 acc10, v10                     // 
v_accvgpr_write_b32 acc42, v14                     // 
v_accvgpr_write_b32 acc74, v18                     // 
v_accvgpr_write_b32 acc106, v22                    // 
v_accvgpr_write_b32 acc138, v26                    // 
v_accvgpr_write_b32 acc170, v30                    // 
v_accvgpr_write_b32 acc202, v34                    // 
v_accvgpr_write_b32 acc234, v38                    // 
s_mov_b64 s[54:55], 0xFFFFFFFFFFFFFFFF             // to restore all threads active
s_or_saveexec_b64 vcc, s[54:55]                    // all threads active
s_nop 3                                            // wait for exec mask
s_branch label_0106                                // done

/******************************************/
/* shift d0 shift=7 glvwblk=0             */
/******************************************/
label_0064:
v_and_b32 v6, 63, v[vgprSerial]                    // permute register between threads
v_lshlrev_b32 v6, 0x2, v6                          // permute register between threads
v_lshrrev_b32 v0, 5, v[vgprSerial]                 // v0 = v[vgprSerial] / 32
v_and_b32 v7, 1, v0                                // v7 = v0 % 2
v_accvgpr_read_b32 v8, acc21                       // 
v_accvgpr_read_b32 v12, acc53                      // 
v_accvgpr_read_b32 v16, acc85                      // 
v_accvgpr_read_b32 v20, acc117                     // 
v_accvgpr_read_b32 v24, acc149                     // 
v_accvgpr_read_b32 v28, acc181                     // 
v_accvgpr_read_b32 v32, acc213                     // 
v_accvgpr_read_b32 v36, acc245                     // 
v_accvgpr_read_b32 v9, acc22                       // 
v_accvgpr_read_b32 v13, acc54                      // 
v_accvgpr_read_b32 v17, acc86                      // 
v_accvgpr_read_b32 v21, acc118                     // 
v_accvgpr_read_b32 v25, acc150                     // 
v_accvgpr_read_b32 v29, acc182                     // 
v_accvgpr_read_b32 v33, acc214                     // 
v_accvgpr_read_b32 v37, acc246                     // 
v_accvgpr_read_b32 v10, acc23                      // 
v_accvgpr_read_b32 v14, acc55                      // 
v_accvgpr_read_b32 v18, acc87                      // 
v_accvgpr_read_b32 v22, acc119                     // 
v_accvgpr_read_b32 v26, acc151                     // 
v_accvgpr_read_b32 v30, acc183                     // 
v_accvgpr_read_b32 v34, acc215                     // 
v_accvgpr_read_b32 v38, acc247                     // 
v_accvgpr_read_b32 v11, acc20                      // 
v_accvgpr_read_b32 v15, acc52                      // 
v_accvgpr_read_b32 v19, acc84                      // 
v_accvgpr_read_b32 v23, acc116                     // 
v_accvgpr_read_b32 v27, acc148                     // 
v_accvgpr_read_b32 v31, acc180                     // 
v_accvgpr_read_b32 v35, acc212                     // 
v_accvgpr_read_b32 v39, acc244                     // 
s_nop 1                                            // v_accvgpr read vgpr after write vgpr: 2 wait states
ds_bpermute_b32 v11, v6, v11, offset:128           // permute edge values
ds_bpermute_b32 v15, v6, v15, offset:128           // permute edge values
	;; [unrolled: 1-line block ×8, first 2 shown]
s_waitcnt lgkmcnt(0)                               // wait for swizzle operation
s_mov_b32 s54, 0                                   // which thread need to shfit in this block
_v_cmpx_eq_u32 s[54:55], v7, s54                   // is thread in edge glvw region
s_nop 3                                            // wait for exec mask
v_accvgpr_write_b32 acc16, v8                      // 
v_accvgpr_write_b32 acc48, v12                     // 
v_accvgpr_write_b32 acc80, v16                     // 
v_accvgpr_write_b32 acc112, v20                    // 
v_accvgpr_write_b32 acc144, v24                    // 
v_accvgpr_write_b32 acc176, v28                    // 
v_accvgpr_write_b32 acc208, v32                    // 
v_accvgpr_write_b32 acc240, v36                    // 
v_accvgpr_write_b32 acc17, v9                      // 
v_accvgpr_write_b32 acc49, v13                     // 
v_accvgpr_write_b32 acc81, v17                     // 
v_accvgpr_write_b32 acc113, v21                    // 
v_accvgpr_write_b32 acc145, v25                    // 
v_accvgpr_write_b32 acc177, v29                    // 
v_accvgpr_write_b32 acc209, v33                    // 
v_accvgpr_write_b32 acc241, v37                    // 
v_accvgpr_write_b32 acc18, v10                     // 
v_accvgpr_write_b32 acc50, v14                     // 
v_accvgpr_write_b32 acc82, v18                     // 
v_accvgpr_write_b32 acc114, v22                    // 
v_accvgpr_write_b32 acc146, v26                    // 
v_accvgpr_write_b32 acc178, v30                    // 
v_accvgpr_write_b32 acc210, v34                    // 
v_accvgpr_write_b32 acc242, v38                    // 
v_accvgpr_write_b32 acc19, v11                     // 
v_accvgpr_write_b32 acc51, v15                     // 
v_accvgpr_write_b32 acc83, v19                     // 
v_accvgpr_write_b32 acc115, v23                    // 
v_accvgpr_write_b32 acc147, v27                    // 
v_accvgpr_write_b32 acc179, v31                    // 
v_accvgpr_write_b32 acc211, v35                    // 
v_accvgpr_write_b32 acc243, v39                    // 
s_mov_b64 s[54:55], 0xFFFFFFFFFFFFFFFF             // to restore all threads active
s_or_saveexec_b64 vcc, s[54:55]                    // all threads active
s_nop 3                                            // wait for exec mask
v_accvgpr_read_b32 v8, acc21                       // 
v_accvgpr_read_b32 v12, acc53                      // 
v_accvgpr_read_b32 v16, acc85                      // 
v_accvgpr_read_b32 v20, acc117                     // 
v_accvgpr_read_b32 v24, acc149                     // 
v_accvgpr_read_b32 v28, acc181                     // 
v_accvgpr_read_b32 v32, acc213                     // 
v_accvgpr_read_b32 v36, acc245                     // 
v_accvgpr_read_b32 v9, acc22                       // 
v_accvgpr_read_b32 v13, acc54                      // 
v_accvgpr_read_b32 v17, acc86                      // 
v_accvgpr_read_b32 v21, acc118                     // 
v_accvgpr_read_b32 v25, acc150                     // 
v_accvgpr_read_b32 v29, acc182                     // 
v_accvgpr_read_b32 v33, acc214                     // 
v_accvgpr_read_b32 v37, acc246                     // 
v_accvgpr_read_b32 v10, acc23                      // 
v_accvgpr_read_b32 v14, acc55                      // 
v_accvgpr_read_b32 v18, acc87                      // 
v_accvgpr_read_b32 v22, acc119                     // 
v_accvgpr_read_b32 v26, acc151                     // 
v_accvgpr_read_b32 v30, acc183                     // 
v_accvgpr_read_b32 v34, acc215                     // 
v_accvgpr_read_b32 v38, acc247                     // 
s_nop 1                                            // v_accvgpr read vgpr after write vgpr: 2 wait states
s_mov_b32 s54, 1                                   // which thread need to shfit in this block
_v_cmpx_eq_u32 s[54:55], v7, s54                   // is thread in edge glvw region
s_nop 3                                            // wait for exec mask
v_accvgpr_write_b32 acc16, v8                      // 
v_accvgpr_write_b32 acc48, v12                     // 
v_accvgpr_write_b32 acc80, v16                     // 
v_accvgpr_write_b32 acc112, v20                    // 
v_accvgpr_write_b32 acc144, v24                    // 
v_accvgpr_write_b32 acc176, v28                    // 
v_accvgpr_write_b32 acc208, v32                    // 
v_accvgpr_write_b32 acc240, v36                    // 
v_accvgpr_write_b32 acc17, v9                      // 
v_accvgpr_write_b32 acc49, v13                     // 
v_accvgpr_write_b32 acc81, v17                     // 
v_accvgpr_write_b32 acc113, v21                    // 
v_accvgpr_write_b32 acc145, v25                    // 
v_accvgpr_write_b32 acc177, v29                    // 
v_accvgpr_write_b32 acc209, v33                    // 
v_accvgpr_write_b32 acc241, v37                    // 
v_accvgpr_write_b32 acc18, v10                     // 
v_accvgpr_write_b32 acc50, v14                     // 
v_accvgpr_write_b32 acc82, v18                     // 
v_accvgpr_write_b32 acc114, v22                    // 
v_accvgpr_write_b32 acc146, v26                    // 
v_accvgpr_write_b32 acc178, v30                    // 
v_accvgpr_write_b32 acc210, v34                    // 
v_accvgpr_write_b32 acc242, v38                    // 
s_mov_b64 s[54:55], 0xFFFFFFFFFFFFFFFF             // to restore all threads active
s_or_saveexec_b64 vcc, s[54:55]                    // all threads active
s_nop 3                                            // wait for exec mask
s_branch label_0106                                // done

/******************************************/
/* shift d0 shift=7 glvwblk=1             */
/******************************************/
label_0065:
v_and_b32 v6, 63, v[vgprSerial]                    // permute register between threads
v_lshlrev_b32 v6, 0x2, v6                          // permute register between threads
v_lshrrev_b32 v0, 5, v[vgprSerial]                 // v0 = v[vgprSerial] / 32
v_and_b32 v7, 1, v0                                // v7 = v0 % 2
v_accvgpr_read_b32 v8, acc29                       // 
v_accvgpr_read_b32 v12, acc61                      // 
v_accvgpr_read_b32 v16, acc93                      // 
v_accvgpr_read_b32 v20, acc125                     // 
v_accvgpr_read_b32 v24, acc157                     // 
v_accvgpr_read_b32 v28, acc189                     // 
v_accvgpr_read_b32 v32, acc221                     // 
v_accvgpr_read_b32 v36, acc253                     // 
v_accvgpr_read_b32 v9, acc30                       // 
v_accvgpr_read_b32 v13, acc62                      // 
v_accvgpr_read_b32 v17, acc94                      // 
v_accvgpr_read_b32 v21, acc126                     // 
v_accvgpr_read_b32 v25, acc158                     // 
v_accvgpr_read_b32 v29, acc190                     // 
v_accvgpr_read_b32 v33, acc222                     // 
v_accvgpr_read_b32 v37, acc254                     // 
v_accvgpr_read_b32 v10, acc31                      // 
v_accvgpr_read_b32 v14, acc63                      // 
v_accvgpr_read_b32 v18, acc95                      // 
v_accvgpr_read_b32 v22, acc127                     // 
v_accvgpr_read_b32 v26, acc159                     // 
v_accvgpr_read_b32 v30, acc191                     // 
v_accvgpr_read_b32 v34, acc223                     // 
v_accvgpr_read_b32 v38, acc255                     // 
v_accvgpr_read_b32 v11, acc28                      // 
v_accvgpr_read_b32 v15, acc60                      // 
v_accvgpr_read_b32 v19, acc92                      // 
v_accvgpr_read_b32 v23, acc124                     // 
v_accvgpr_read_b32 v27, acc156                     // 
v_accvgpr_read_b32 v31, acc188                     // 
v_accvgpr_read_b32 v35, acc220                     // 
v_accvgpr_read_b32 v39, acc252                     // 
s_nop 1                                            // v_accvgpr read vgpr after write vgpr: 2 wait states
ds_bpermute_b32 v11, v6, v11, offset:128           // permute edge values
ds_bpermute_b32 v15, v6, v15, offset:128           // permute edge values
	;; [unrolled: 1-line block ×8, first 2 shown]
s_waitcnt lgkmcnt(0)                               // wait for swizzle operation
s_mov_b32 s54, 0                                   // which thread need to shfit in this block
_v_cmpx_eq_u32 s[54:55], v7, s54                   // is thread in edge glvw region
s_nop 3                                            // wait for exec mask
v_accvgpr_write_b32 acc24, v8                      // 
v_accvgpr_write_b32 acc56, v12                     // 
v_accvgpr_write_b32 acc88, v16                     // 
v_accvgpr_write_b32 acc120, v20                    // 
v_accvgpr_write_b32 acc152, v24                    // 
v_accvgpr_write_b32 acc184, v28                    // 
v_accvgpr_write_b32 acc216, v32                    // 
v_accvgpr_write_b32 acc248, v36                    // 
v_accvgpr_write_b32 acc25, v9                      // 
v_accvgpr_write_b32 acc57, v13                     // 
v_accvgpr_write_b32 acc89, v17                     // 
v_accvgpr_write_b32 acc121, v21                    // 
v_accvgpr_write_b32 acc153, v25                    // 
v_accvgpr_write_b32 acc185, v29                    // 
v_accvgpr_write_b32 acc217, v33                    // 
v_accvgpr_write_b32 acc249, v37                    // 
v_accvgpr_write_b32 acc26, v10                     // 
v_accvgpr_write_b32 acc58, v14                     // 
v_accvgpr_write_b32 acc90, v18                     // 
v_accvgpr_write_b32 acc122, v22                    // 
v_accvgpr_write_b32 acc154, v26                    // 
v_accvgpr_write_b32 acc186, v30                    // 
v_accvgpr_write_b32 acc218, v34                    // 
v_accvgpr_write_b32 acc250, v38                    // 
v_accvgpr_write_b32 acc27, v11                     // 
v_accvgpr_write_b32 acc59, v15                     // 
v_accvgpr_write_b32 acc91, v19                     // 
v_accvgpr_write_b32 acc123, v23                    // 
v_accvgpr_write_b32 acc155, v27                    // 
v_accvgpr_write_b32 acc187, v31                    // 
v_accvgpr_write_b32 acc219, v35                    // 
v_accvgpr_write_b32 acc251, v39                    // 
s_mov_b64 s[54:55], 0xFFFFFFFFFFFFFFFF             // to restore all threads active
s_or_saveexec_b64 vcc, s[54:55]                    // all threads active
s_nop 3                                            // wait for exec mask
v_accvgpr_read_b32 v8, acc29                       // 
v_accvgpr_read_b32 v12, acc61                      // 
v_accvgpr_read_b32 v16, acc93                      // 
v_accvgpr_read_b32 v20, acc125                     // 
v_accvgpr_read_b32 v24, acc157                     // 
v_accvgpr_read_b32 v28, acc189                     // 
v_accvgpr_read_b32 v32, acc221                     // 
v_accvgpr_read_b32 v36, acc253                     // 
v_accvgpr_read_b32 v9, acc30                       // 
v_accvgpr_read_b32 v13, acc62                      // 
v_accvgpr_read_b32 v17, acc94                      // 
v_accvgpr_read_b32 v21, acc126                     // 
v_accvgpr_read_b32 v25, acc158                     // 
v_accvgpr_read_b32 v29, acc190                     // 
v_accvgpr_read_b32 v33, acc222                     // 
v_accvgpr_read_b32 v37, acc254                     // 
v_accvgpr_read_b32 v10, acc31                      // 
v_accvgpr_read_b32 v14, acc63                      // 
v_accvgpr_read_b32 v18, acc95                      // 
v_accvgpr_read_b32 v22, acc127                     // 
v_accvgpr_read_b32 v26, acc159                     // 
v_accvgpr_read_b32 v30, acc191                     // 
v_accvgpr_read_b32 v34, acc223                     // 
v_accvgpr_read_b32 v38, acc255                     // 
s_nop 1                                            // v_accvgpr read vgpr after write vgpr: 2 wait states
s_mov_b32 s54, 1                                   // which thread need to shfit in this block
_v_cmpx_eq_u32 s[54:55], v7, s54                   // is thread in edge glvw region
s_nop 3                                            // wait for exec mask
v_accvgpr_write_b32 acc24, v8                      // 
v_accvgpr_write_b32 acc56, v12                     // 
v_accvgpr_write_b32 acc88, v16                     // 
v_accvgpr_write_b32 acc120, v20                    // 
v_accvgpr_write_b32 acc152, v24                    // 
v_accvgpr_write_b32 acc184, v28                    // 
v_accvgpr_write_b32 acc216, v32                    // 
v_accvgpr_write_b32 acc248, v36                    // 
v_accvgpr_write_b32 acc25, v9                      // 
v_accvgpr_write_b32 acc57, v13                     // 
v_accvgpr_write_b32 acc89, v17                     // 
v_accvgpr_write_b32 acc121, v21                    // 
v_accvgpr_write_b32 acc153, v25                    // 
v_accvgpr_write_b32 acc185, v29                    // 
v_accvgpr_write_b32 acc217, v33                    // 
v_accvgpr_write_b32 acc249, v37                    // 
v_accvgpr_write_b32 acc26, v10                     // 
v_accvgpr_write_b32 acc58, v14                     // 
v_accvgpr_write_b32 acc90, v18                     // 
v_accvgpr_write_b32 acc122, v22                    // 
v_accvgpr_write_b32 acc154, v26                    // 
v_accvgpr_write_b32 acc186, v30                    // 
v_accvgpr_write_b32 acc218, v34                    // 
v_accvgpr_write_b32 acc250, v38                    // 
s_mov_b64 s[54:55], 0xFFFFFFFFFFFFFFFF             // to restore all threads active
s_or_saveexec_b64 vcc, s[54:55]                    // all threads active
s_nop 3                                            // wait for exec mask
s_branch label_0106                                // done

/******************************************/
/* shift d0 shift=8 glvwblk=0             */
/******************************************/
label_0067:
v_and_b32 v6, 63, v[vgprSerial]                    // permute register between threads
v_lshlrev_b32 v6, 0x2, v6                          // permute register between threads
v_lshrrev_b32 v0, 5, v[vgprSerial]                 // v0 = v[vgprSerial] / 32
v_and_b32 v7, 1, v0                                // v7 = v0 % 2
v_accvgpr_read_b32 v8, acc4                        // 
v_accvgpr_read_b32 v12, acc36                      // 
v_accvgpr_read_b32 v16, acc68                      // 
v_accvgpr_read_b32 v20, acc100                     // 
v_accvgpr_read_b32 v24, acc132                     // 
v_accvgpr_read_b32 v28, acc164                     // 
v_accvgpr_read_b32 v32, acc196                     // 
v_accvgpr_read_b32 v36, acc228                     // 
v_accvgpr_read_b32 v9, acc5                        // 
v_accvgpr_read_b32 v13, acc37                      // 
v_accvgpr_read_b32 v17, acc69                      // 
v_accvgpr_read_b32 v21, acc101                     // 
v_accvgpr_read_b32 v25, acc133                     // 
v_accvgpr_read_b32 v29, acc165                     // 
v_accvgpr_read_b32 v33, acc197                     // 
v_accvgpr_read_b32 v37, acc229                     // 
v_accvgpr_read_b32 v10, acc6                       // 
v_accvgpr_read_b32 v14, acc38                      // 
v_accvgpr_read_b32 v18, acc70                      // 
v_accvgpr_read_b32 v22, acc102                     // 
v_accvgpr_read_b32 v26, acc134                     // 
v_accvgpr_read_b32 v30, acc166                     // 
v_accvgpr_read_b32 v34, acc198                     // 
v_accvgpr_read_b32 v38, acc230                     // 
v_accvgpr_read_b32 v11, acc7                       // 
v_accvgpr_read_b32 v15, acc39                      // 
v_accvgpr_read_b32 v19, acc71                      // 
v_accvgpr_read_b32 v23, acc103                     // 
v_accvgpr_read_b32 v27, acc135                     // 
v_accvgpr_read_b32 v31, acc167                     // 
v_accvgpr_read_b32 v35, acc199                     // 
v_accvgpr_read_b32 v39, acc231                     // 
s_nop 1                                            // v_accvgpr read vgpr after write vgpr: 2 wait states
s_mov_b32 s54, 0                                   // which thread need to shfit in this block
_v_cmpx_eq_u32 s[54:55], v7, s54                   // is thread in edge glvw region
s_nop 3                                            // wait for exec mask
v_accvgpr_write_b32 acc0, v8                       // 
v_accvgpr_write_b32 acc32, v12                     // 
v_accvgpr_write_b32 acc64, v16                     // 
v_accvgpr_write_b32 acc96, v20                     // 
v_accvgpr_write_b32 acc128, v24                    // 
v_accvgpr_write_b32 acc160, v28                    // 
v_accvgpr_write_b32 acc192, v32                    // 
v_accvgpr_write_b32 acc224, v36                    // 
v_accvgpr_write_b32 acc1, v9                       // 
v_accvgpr_write_b32 acc33, v13                     // 
v_accvgpr_write_b32 acc65, v17                     // 
v_accvgpr_write_b32 acc97, v21                     // 
v_accvgpr_write_b32 acc129, v25                    // 
v_accvgpr_write_b32 acc161, v29                    // 
v_accvgpr_write_b32 acc193, v33                    // 
v_accvgpr_write_b32 acc225, v37                    // 
v_accvgpr_write_b32 acc2, v10                      // 
v_accvgpr_write_b32 acc34, v14                     // 
v_accvgpr_write_b32 acc66, v18                     // 
v_accvgpr_write_b32 acc98, v22                     // 
v_accvgpr_write_b32 acc130, v26                    // 
v_accvgpr_write_b32 acc162, v30                    // 
v_accvgpr_write_b32 acc194, v34                    // 
v_accvgpr_write_b32 acc226, v38                    // 
v_accvgpr_write_b32 acc3, v11                      // 
v_accvgpr_write_b32 acc35, v15                     // 
v_accvgpr_write_b32 acc67, v19                     // 
v_accvgpr_write_b32 acc99, v23                     // 
v_accvgpr_write_b32 acc131, v27                    // 
v_accvgpr_write_b32 acc163, v31                    // 
v_accvgpr_write_b32 acc195, v35                    // 
v_accvgpr_write_b32 acc227, v39                    // 
s_mov_b64 s[54:55], 0xFFFFFFFFFFFFFFFF             // to restore all threads active
s_or_saveexec_b64 vcc, s[54:55]                    // all threads active
s_nop 3                                            // wait for exec mask
v_accvgpr_read_b32 v8, acc4                        // 
v_accvgpr_read_b32 v12, acc36                      // 
v_accvgpr_read_b32 v16, acc68                      // 
v_accvgpr_read_b32 v20, acc100                     // 
v_accvgpr_read_b32 v24, acc132                     // 
v_accvgpr_read_b32 v28, acc164                     // 
v_accvgpr_read_b32 v32, acc196                     // 
v_accvgpr_read_b32 v36, acc228                     // 
v_accvgpr_read_b32 v9, acc5                        // 
v_accvgpr_read_b32 v13, acc37                      // 
v_accvgpr_read_b32 v17, acc69                      // 
v_accvgpr_read_b32 v21, acc101                     // 
v_accvgpr_read_b32 v25, acc133                     // 
v_accvgpr_read_b32 v29, acc165                     // 
v_accvgpr_read_b32 v33, acc197                     // 
v_accvgpr_read_b32 v37, acc229                     // 
v_accvgpr_read_b32 v10, acc6                       // 
v_accvgpr_read_b32 v14, acc38                      // 
v_accvgpr_read_b32 v18, acc70                      // 
v_accvgpr_read_b32 v22, acc102                     // 
v_accvgpr_read_b32 v26, acc134                     // 
v_accvgpr_read_b32 v30, acc166                     // 
v_accvgpr_read_b32 v34, acc198                     // 
v_accvgpr_read_b32 v38, acc230                     // 
v_accvgpr_read_b32 v11, acc7                       // 
v_accvgpr_read_b32 v15, acc39                      // 
v_accvgpr_read_b32 v19, acc71                      // 
v_accvgpr_read_b32 v23, acc103                     // 
v_accvgpr_read_b32 v27, acc135                     // 
v_accvgpr_read_b32 v31, acc167                     // 
v_accvgpr_read_b32 v35, acc199                     // 
v_accvgpr_read_b32 v39, acc231                     // 
s_nop 1                                            // v_accvgpr read vgpr after write vgpr: 2 wait states
s_mov_b32 s54, 1                                   // which thread need to shfit in this block
_v_cmpx_eq_u32 s[54:55], v7, s54                   // is thread in edge glvw region
s_nop 3                                            // wait for exec mask
v_accvgpr_write_b32 acc0, v8                       // 
v_accvgpr_write_b32 acc32, v12                     // 
v_accvgpr_write_b32 acc64, v16                     // 
v_accvgpr_write_b32 acc96, v20                     // 
v_accvgpr_write_b32 acc128, v24                    // 
v_accvgpr_write_b32 acc160, v28                    // 
v_accvgpr_write_b32 acc192, v32                    // 
v_accvgpr_write_b32 acc224, v36                    // 
v_accvgpr_write_b32 acc1, v9                       // 
v_accvgpr_write_b32 acc33, v13                     // 
v_accvgpr_write_b32 acc65, v17                     // 
v_accvgpr_write_b32 acc97, v21                     // 
v_accvgpr_write_b32 acc129, v25                    // 
v_accvgpr_write_b32 acc161, v29                    // 
v_accvgpr_write_b32 acc193, v33                    // 
v_accvgpr_write_b32 acc225, v37                    // 
v_accvgpr_write_b32 acc2, v10                      // 
v_accvgpr_write_b32 acc34, v14                     // 
v_accvgpr_write_b32 acc66, v18                     // 
v_accvgpr_write_b32 acc98, v22                     // 
v_accvgpr_write_b32 acc130, v26                    // 
v_accvgpr_write_b32 acc162, v30                    // 
v_accvgpr_write_b32 acc194, v34                    // 
v_accvgpr_write_b32 acc226, v38                    // 
v_accvgpr_write_b32 acc3, v11                      // 
v_accvgpr_write_b32 acc35, v15                     // 
v_accvgpr_write_b32 acc67, v19                     // 
v_accvgpr_write_b32 acc99, v23                     // 
v_accvgpr_write_b32 acc131, v27                    // 
v_accvgpr_write_b32 acc163, v31                    // 
v_accvgpr_write_b32 acc195, v35                    // 
v_accvgpr_write_b32 acc227, v39                    // 
s_mov_b64 s[54:55], 0xFFFFFFFFFFFFFFFF             // to restore all threads active
s_or_saveexec_b64 vcc, s[54:55]                    // all threads active
s_nop 3                                            // wait for exec mask
s_branch label_0106                                // done

/******************************************/
/* shift d0 shift=8 glvwblk=1             */
/******************************************/
label_0068:
v_and_b32 v6, 63, v[vgprSerial]                    // permute register between threads
v_lshlrev_b32 v6, 0x2, v6                          // permute register between threads
v_lshrrev_b32 v0, 5, v[vgprSerial]                 // v0 = v[vgprSerial] / 32
v_and_b32 v7, 1, v0                                // v7 = v0 % 2
v_accvgpr_read_b32 v8, acc12                       // 
v_accvgpr_read_b32 v12, acc44                      // 
v_accvgpr_read_b32 v16, acc76                      // 
v_accvgpr_read_b32 v20, acc108                     // 
v_accvgpr_read_b32 v24, acc140                     // 
v_accvgpr_read_b32 v28, acc172                     // 
v_accvgpr_read_b32 v32, acc204                     // 
v_accvgpr_read_b32 v36, acc236                     // 
v_accvgpr_read_b32 v9, acc13                       // 
v_accvgpr_read_b32 v13, acc45                      // 
v_accvgpr_read_b32 v17, acc77                      // 
v_accvgpr_read_b32 v21, acc109                     // 
v_accvgpr_read_b32 v25, acc141                     // 
v_accvgpr_read_b32 v29, acc173                     // 
v_accvgpr_read_b32 v33, acc205                     // 
v_accvgpr_read_b32 v37, acc237                     // 
v_accvgpr_read_b32 v10, acc14                      // 
v_accvgpr_read_b32 v14, acc46                      // 
v_accvgpr_read_b32 v18, acc78                      // 
v_accvgpr_read_b32 v22, acc110                     // 
v_accvgpr_read_b32 v26, acc142                     // 
v_accvgpr_read_b32 v30, acc174                     // 
v_accvgpr_read_b32 v34, acc206                     // 
v_accvgpr_read_b32 v38, acc238                     // 
v_accvgpr_read_b32 v11, acc15                      // 
v_accvgpr_read_b32 v15, acc47                      // 
v_accvgpr_read_b32 v19, acc79                      // 
v_accvgpr_read_b32 v23, acc111                     // 
v_accvgpr_read_b32 v27, acc143                     // 
v_accvgpr_read_b32 v31, acc175                     // 
v_accvgpr_read_b32 v35, acc207                     // 
v_accvgpr_read_b32 v39, acc239                     // 
s_nop 1                                            // v_accvgpr read vgpr after write vgpr: 2 wait states
s_mov_b32 s54, 0                                   // which thread need to shfit in this block
_v_cmpx_eq_u32 s[54:55], v7, s54                   // is thread in edge glvw region
s_nop 3                                            // wait for exec mask
v_accvgpr_write_b32 acc8, v8                       // 
v_accvgpr_write_b32 acc40, v12                     // 
v_accvgpr_write_b32 acc72, v16                     // 
v_accvgpr_write_b32 acc104, v20                    // 
v_accvgpr_write_b32 acc136, v24                    // 
v_accvgpr_write_b32 acc168, v28                    // 
v_accvgpr_write_b32 acc200, v32                    // 
v_accvgpr_write_b32 acc232, v36                    // 
v_accvgpr_write_b32 acc9, v9                       // 
v_accvgpr_write_b32 acc41, v13                     // 
v_accvgpr_write_b32 acc73, v17                     // 
v_accvgpr_write_b32 acc105, v21                    // 
v_accvgpr_write_b32 acc137, v25                    // 
v_accvgpr_write_b32 acc169, v29                    // 
v_accvgpr_write_b32 acc201, v33                    // 
v_accvgpr_write_b32 acc233, v37                    // 
v_accvgpr_write_b32 acc10, v10                     // 
v_accvgpr_write_b32 acc42, v14                     // 
v_accvgpr_write_b32 acc74, v18                     // 
v_accvgpr_write_b32 acc106, v22                    // 
v_accvgpr_write_b32 acc138, v26                    // 
v_accvgpr_write_b32 acc170, v30                    // 
v_accvgpr_write_b32 acc202, v34                    // 
v_accvgpr_write_b32 acc234, v38                    // 
v_accvgpr_write_b32 acc11, v11                     // 
v_accvgpr_write_b32 acc43, v15                     // 
v_accvgpr_write_b32 acc75, v19                     // 
v_accvgpr_write_b32 acc107, v23                    // 
v_accvgpr_write_b32 acc139, v27                    // 
v_accvgpr_write_b32 acc171, v31                    // 
v_accvgpr_write_b32 acc203, v35                    // 
v_accvgpr_write_b32 acc235, v39                    // 
s_mov_b64 s[54:55], 0xFFFFFFFFFFFFFFFF             // to restore all threads active
s_or_saveexec_b64 vcc, s[54:55]                    // all threads active
s_nop 3                                            // wait for exec mask
v_accvgpr_read_b32 v8, acc12                       // 
v_accvgpr_read_b32 v12, acc44                      // 
v_accvgpr_read_b32 v16, acc76                      // 
v_accvgpr_read_b32 v20, acc108                     // 
v_accvgpr_read_b32 v24, acc140                     // 
v_accvgpr_read_b32 v28, acc172                     // 
v_accvgpr_read_b32 v32, acc204                     // 
v_accvgpr_read_b32 v36, acc236                     // 
v_accvgpr_read_b32 v9, acc13                       // 
v_accvgpr_read_b32 v13, acc45                      // 
v_accvgpr_read_b32 v17, acc77                      // 
v_accvgpr_read_b32 v21, acc109                     // 
v_accvgpr_read_b32 v25, acc141                     // 
v_accvgpr_read_b32 v29, acc173                     // 
v_accvgpr_read_b32 v33, acc205                     // 
v_accvgpr_read_b32 v37, acc237                     // 
v_accvgpr_read_b32 v10, acc14                      // 
v_accvgpr_read_b32 v14, acc46                      // 
v_accvgpr_read_b32 v18, acc78                      // 
v_accvgpr_read_b32 v22, acc110                     // 
v_accvgpr_read_b32 v26, acc142                     // 
v_accvgpr_read_b32 v30, acc174                     // 
v_accvgpr_read_b32 v34, acc206                     // 
v_accvgpr_read_b32 v38, acc238                     // 
v_accvgpr_read_b32 v11, acc15                      // 
v_accvgpr_read_b32 v15, acc47                      // 
v_accvgpr_read_b32 v19, acc79                      // 
v_accvgpr_read_b32 v23, acc111                     // 
v_accvgpr_read_b32 v27, acc143                     // 
v_accvgpr_read_b32 v31, acc175                     // 
v_accvgpr_read_b32 v35, acc207                     // 
v_accvgpr_read_b32 v39, acc239                     // 
s_nop 1                                            // v_accvgpr read vgpr after write vgpr: 2 wait states
s_mov_b32 s54, 1                                   // which thread need to shfit in this block
_v_cmpx_eq_u32 s[54:55], v7, s54                   // is thread in edge glvw region
s_nop 3                                            // wait for exec mask
v_accvgpr_write_b32 acc8, v8                       // 
v_accvgpr_write_b32 acc40, v12                     // 
v_accvgpr_write_b32 acc72, v16                     // 
v_accvgpr_write_b32 acc104, v20                    // 
v_accvgpr_write_b32 acc136, v24                    // 
v_accvgpr_write_b32 acc168, v28                    // 
v_accvgpr_write_b32 acc200, v32                    // 
v_accvgpr_write_b32 acc232, v36                    // 
v_accvgpr_write_b32 acc9, v9                       // 
v_accvgpr_write_b32 acc41, v13                     // 
v_accvgpr_write_b32 acc73, v17                     // 
v_accvgpr_write_b32 acc105, v21                    // 
v_accvgpr_write_b32 acc137, v25                    // 
v_accvgpr_write_b32 acc169, v29                    // 
v_accvgpr_write_b32 acc201, v33                    // 
v_accvgpr_write_b32 acc233, v37                    // 
v_accvgpr_write_b32 acc10, v10                     // 
v_accvgpr_write_b32 acc42, v14                     // 
v_accvgpr_write_b32 acc74, v18                     // 
v_accvgpr_write_b32 acc106, v22                    // 
v_accvgpr_write_b32 acc138, v26                    // 
v_accvgpr_write_b32 acc170, v30                    // 
v_accvgpr_write_b32 acc202, v34                    // 
v_accvgpr_write_b32 acc234, v38                    // 
v_accvgpr_write_b32 acc11, v11                     // 
v_accvgpr_write_b32 acc43, v15                     // 
v_accvgpr_write_b32 acc75, v19                     // 
v_accvgpr_write_b32 acc107, v23                    // 
v_accvgpr_write_b32 acc139, v27                    // 
v_accvgpr_write_b32 acc171, v31                    // 
v_accvgpr_write_b32 acc203, v35                    // 
v_accvgpr_write_b32 acc235, v39                    // 
s_mov_b64 s[54:55], 0xFFFFFFFFFFFFFFFF             // to restore all threads active
s_or_saveexec_b64 vcc, s[54:55]                    // all threads active
s_nop 3                                            // wait for exec mask
s_branch label_0106                                // done

/******************************************/
/* shift d0 shift=8 glvwblk=0             */
/******************************************/
label_0069:
v_and_b32 v6, 63, v[vgprSerial]                    // permute register between threads
v_lshlrev_b32 v6, 0x2, v6                          // permute register between threads
v_lshrrev_b32 v0, 5, v[vgprSerial]                 // v0 = v[vgprSerial] / 32
v_and_b32 v7, 1, v0                                // v7 = v0 % 2
v_accvgpr_read_b32 v8, acc20                       // 
v_accvgpr_read_b32 v12, acc52                      // 
v_accvgpr_read_b32 v16, acc84                      // 
v_accvgpr_read_b32 v20, acc116                     // 
v_accvgpr_read_b32 v24, acc148                     // 
v_accvgpr_read_b32 v28, acc180                     // 
v_accvgpr_read_b32 v32, acc212                     // 
v_accvgpr_read_b32 v36, acc244                     // 
v_accvgpr_read_b32 v9, acc21                       // 
v_accvgpr_read_b32 v13, acc53                      // 
v_accvgpr_read_b32 v17, acc85                      // 
v_accvgpr_read_b32 v21, acc117                     // 
v_accvgpr_read_b32 v25, acc149                     // 
v_accvgpr_read_b32 v29, acc181                     // 
v_accvgpr_read_b32 v33, acc213                     // 
v_accvgpr_read_b32 v37, acc245                     // 
v_accvgpr_read_b32 v10, acc22                      // 
v_accvgpr_read_b32 v14, acc54                      // 
v_accvgpr_read_b32 v18, acc86                      // 
v_accvgpr_read_b32 v22, acc118                     // 
v_accvgpr_read_b32 v26, acc150                     // 
v_accvgpr_read_b32 v30, acc182                     // 
v_accvgpr_read_b32 v34, acc214                     // 
v_accvgpr_read_b32 v38, acc246                     // 
v_accvgpr_read_b32 v11, acc23                      // 
v_accvgpr_read_b32 v15, acc55                      // 
v_accvgpr_read_b32 v19, acc87                      // 
v_accvgpr_read_b32 v23, acc119                     // 
v_accvgpr_read_b32 v27, acc151                     // 
v_accvgpr_read_b32 v31, acc183                     // 
v_accvgpr_read_b32 v35, acc215                     // 
v_accvgpr_read_b32 v39, acc247                     // 
s_nop 1                                            // v_accvgpr read vgpr after write vgpr: 2 wait states
s_mov_b32 s54, 0                                   // which thread need to shfit in this block
_v_cmpx_eq_u32 s[54:55], v7, s54                   // is thread in edge glvw region
s_nop 3                                            // wait for exec mask
v_accvgpr_write_b32 acc16, v8                      // 
v_accvgpr_write_b32 acc48, v12                     // 
v_accvgpr_write_b32 acc80, v16                     // 
v_accvgpr_write_b32 acc112, v20                    // 
v_accvgpr_write_b32 acc144, v24                    // 
v_accvgpr_write_b32 acc176, v28                    // 
v_accvgpr_write_b32 acc208, v32                    // 
v_accvgpr_write_b32 acc240, v36                    // 
v_accvgpr_write_b32 acc17, v9                      // 
v_accvgpr_write_b32 acc49, v13                     // 
v_accvgpr_write_b32 acc81, v17                     // 
v_accvgpr_write_b32 acc113, v21                    // 
v_accvgpr_write_b32 acc145, v25                    // 
v_accvgpr_write_b32 acc177, v29                    // 
v_accvgpr_write_b32 acc209, v33                    // 
v_accvgpr_write_b32 acc241, v37                    // 
v_accvgpr_write_b32 acc18, v10                     // 
v_accvgpr_write_b32 acc50, v14                     // 
v_accvgpr_write_b32 acc82, v18                     // 
v_accvgpr_write_b32 acc114, v22                    // 
v_accvgpr_write_b32 acc146, v26                    // 
v_accvgpr_write_b32 acc178, v30                    // 
v_accvgpr_write_b32 acc210, v34                    // 
v_accvgpr_write_b32 acc242, v38                    // 
v_accvgpr_write_b32 acc19, v11                     // 
v_accvgpr_write_b32 acc51, v15                     // 
v_accvgpr_write_b32 acc83, v19                     // 
v_accvgpr_write_b32 acc115, v23                    // 
v_accvgpr_write_b32 acc147, v27                    // 
v_accvgpr_write_b32 acc179, v31                    // 
v_accvgpr_write_b32 acc211, v35                    // 
v_accvgpr_write_b32 acc243, v39                    // 
s_mov_b64 s[54:55], 0xFFFFFFFFFFFFFFFF             // to restore all threads active
s_or_saveexec_b64 vcc, s[54:55]                    // all threads active
s_nop 3                                            // wait for exec mask
v_accvgpr_read_b32 v8, acc20                       // 
v_accvgpr_read_b32 v12, acc52                      // 
v_accvgpr_read_b32 v16, acc84                      // 
v_accvgpr_read_b32 v20, acc116                     // 
v_accvgpr_read_b32 v24, acc148                     // 
v_accvgpr_read_b32 v28, acc180                     // 
v_accvgpr_read_b32 v32, acc212                     // 
v_accvgpr_read_b32 v36, acc244                     // 
v_accvgpr_read_b32 v9, acc21                       // 
v_accvgpr_read_b32 v13, acc53                      // 
v_accvgpr_read_b32 v17, acc85                      // 
v_accvgpr_read_b32 v21, acc117                     // 
v_accvgpr_read_b32 v25, acc149                     // 
v_accvgpr_read_b32 v29, acc181                     // 
v_accvgpr_read_b32 v33, acc213                     // 
v_accvgpr_read_b32 v37, acc245                     // 
v_accvgpr_read_b32 v10, acc22                      // 
v_accvgpr_read_b32 v14, acc54                      // 
v_accvgpr_read_b32 v18, acc86                      // 
v_accvgpr_read_b32 v22, acc118                     // 
v_accvgpr_read_b32 v26, acc150                     // 
v_accvgpr_read_b32 v30, acc182                     // 
v_accvgpr_read_b32 v34, acc214                     // 
v_accvgpr_read_b32 v38, acc246                     // 
v_accvgpr_read_b32 v11, acc23                      // 
v_accvgpr_read_b32 v15, acc55                      // 
v_accvgpr_read_b32 v19, acc87                      // 
v_accvgpr_read_b32 v23, acc119                     // 
v_accvgpr_read_b32 v27, acc151                     // 
v_accvgpr_read_b32 v31, acc183                     // 
v_accvgpr_read_b32 v35, acc215                     // 
v_accvgpr_read_b32 v39, acc247                     // 
s_nop 1                                            // v_accvgpr read vgpr after write vgpr: 2 wait states
s_mov_b32 s54, 1                                   // which thread need to shfit in this block
_v_cmpx_eq_u32 s[54:55], v7, s54                   // is thread in edge glvw region
s_nop 3                                            // wait for exec mask
v_accvgpr_write_b32 acc16, v8                      // 
v_accvgpr_write_b32 acc48, v12                     // 
v_accvgpr_write_b32 acc80, v16                     // 
v_accvgpr_write_b32 acc112, v20                    // 
v_accvgpr_write_b32 acc144, v24                    // 
v_accvgpr_write_b32 acc176, v28                    // 
v_accvgpr_write_b32 acc208, v32                    // 
v_accvgpr_write_b32 acc240, v36                    // 
v_accvgpr_write_b32 acc17, v9                      // 
v_accvgpr_write_b32 acc49, v13                     // 
v_accvgpr_write_b32 acc81, v17                     // 
v_accvgpr_write_b32 acc113, v21                    // 
v_accvgpr_write_b32 acc145, v25                    // 
v_accvgpr_write_b32 acc177, v29                    // 
v_accvgpr_write_b32 acc209, v33                    // 
v_accvgpr_write_b32 acc241, v37                    // 
v_accvgpr_write_b32 acc18, v10                     // 
v_accvgpr_write_b32 acc50, v14                     // 
v_accvgpr_write_b32 acc82, v18                     // 
v_accvgpr_write_b32 acc114, v22                    // 
v_accvgpr_write_b32 acc146, v26                    // 
v_accvgpr_write_b32 acc178, v30                    // 
v_accvgpr_write_b32 acc210, v34                    // 
v_accvgpr_write_b32 acc242, v38                    // 
v_accvgpr_write_b32 acc19, v11                     // 
v_accvgpr_write_b32 acc51, v15                     // 
v_accvgpr_write_b32 acc83, v19                     // 
v_accvgpr_write_b32 acc115, v23                    // 
v_accvgpr_write_b32 acc147, v27                    // 
v_accvgpr_write_b32 acc179, v31                    // 
v_accvgpr_write_b32 acc211, v35                    // 
v_accvgpr_write_b32 acc243, v39                    // 
s_mov_b64 s[54:55], 0xFFFFFFFFFFFFFFFF             // to restore all threads active
s_or_saveexec_b64 vcc, s[54:55]                    // all threads active
s_nop 3                                            // wait for exec mask
s_branch label_0106                                // done

/******************************************/
/* shift d0 shift=8 glvwblk=1             */
/******************************************/
label_0070:
v_and_b32 v6, 63, v[vgprSerial]                    // permute register between threads
v_lshlrev_b32 v6, 0x2, v6                          // permute register between threads
v_lshrrev_b32 v0, 5, v[vgprSerial]                 // v0 = v[vgprSerial] / 32
v_and_b32 v7, 1, v0                                // v7 = v0 % 2
v_accvgpr_read_b32 v8, acc28                       // 
v_accvgpr_read_b32 v12, acc60                      // 
v_accvgpr_read_b32 v16, acc92                      // 
v_accvgpr_read_b32 v20, acc124                     // 
v_accvgpr_read_b32 v24, acc156                     // 
v_accvgpr_read_b32 v28, acc188                     // 
v_accvgpr_read_b32 v32, acc220                     // 
v_accvgpr_read_b32 v36, acc252                     // 
v_accvgpr_read_b32 v9, acc29                       // 
v_accvgpr_read_b32 v13, acc61                      // 
v_accvgpr_read_b32 v17, acc93                      // 
v_accvgpr_read_b32 v21, acc125                     // 
v_accvgpr_read_b32 v25, acc157                     // 
v_accvgpr_read_b32 v29, acc189                     // 
v_accvgpr_read_b32 v33, acc221                     // 
v_accvgpr_read_b32 v37, acc253                     // 
v_accvgpr_read_b32 v10, acc30                      // 
v_accvgpr_read_b32 v14, acc62                      // 
v_accvgpr_read_b32 v18, acc94                      // 
v_accvgpr_read_b32 v22, acc126                     // 
v_accvgpr_read_b32 v26, acc158                     // 
v_accvgpr_read_b32 v30, acc190                     // 
v_accvgpr_read_b32 v34, acc222                     // 
v_accvgpr_read_b32 v38, acc254                     // 
v_accvgpr_read_b32 v11, acc31                      // 
v_accvgpr_read_b32 v15, acc63                      // 
v_accvgpr_read_b32 v19, acc95                      // 
v_accvgpr_read_b32 v23, acc127                     // 
v_accvgpr_read_b32 v27, acc159                     // 
v_accvgpr_read_b32 v31, acc191                     // 
v_accvgpr_read_b32 v35, acc223                     // 
v_accvgpr_read_b32 v39, acc255                     // 
s_nop 1                                            // v_accvgpr read vgpr after write vgpr: 2 wait states
s_mov_b32 s54, 0                                   // which thread need to shfit in this block
_v_cmpx_eq_u32 s[54:55], v7, s54                   // is thread in edge glvw region
s_nop 3                                            // wait for exec mask
v_accvgpr_write_b32 acc24, v8                      // 
v_accvgpr_write_b32 acc56, v12                     // 
v_accvgpr_write_b32 acc88, v16                     // 
v_accvgpr_write_b32 acc120, v20                    // 
v_accvgpr_write_b32 acc152, v24                    // 
v_accvgpr_write_b32 acc184, v28                    // 
v_accvgpr_write_b32 acc216, v32                    // 
v_accvgpr_write_b32 acc248, v36                    // 
v_accvgpr_write_b32 acc25, v9                      // 
v_accvgpr_write_b32 acc57, v13                     // 
v_accvgpr_write_b32 acc89, v17                     // 
v_accvgpr_write_b32 acc121, v21                    // 
v_accvgpr_write_b32 acc153, v25                    // 
v_accvgpr_write_b32 acc185, v29                    // 
v_accvgpr_write_b32 acc217, v33                    // 
v_accvgpr_write_b32 acc249, v37                    // 
v_accvgpr_write_b32 acc26, v10                     // 
v_accvgpr_write_b32 acc58, v14                     // 
v_accvgpr_write_b32 acc90, v18                     // 
v_accvgpr_write_b32 acc122, v22                    // 
v_accvgpr_write_b32 acc154, v26                    // 
v_accvgpr_write_b32 acc186, v30                    // 
v_accvgpr_write_b32 acc218, v34                    // 
v_accvgpr_write_b32 acc250, v38                    // 
v_accvgpr_write_b32 acc27, v11                     // 
v_accvgpr_write_b32 acc59, v15                     // 
v_accvgpr_write_b32 acc91, v19                     // 
v_accvgpr_write_b32 acc123, v23                    // 
v_accvgpr_write_b32 acc155, v27                    // 
v_accvgpr_write_b32 acc187, v31                    // 
v_accvgpr_write_b32 acc219, v35                    // 
v_accvgpr_write_b32 acc251, v39                    // 
s_mov_b64 s[54:55], 0xFFFFFFFFFFFFFFFF             // to restore all threads active
s_or_saveexec_b64 vcc, s[54:55]                    // all threads active
s_nop 3                                            // wait for exec mask
v_accvgpr_read_b32 v8, acc28                       // 
v_accvgpr_read_b32 v12, acc60                      // 
v_accvgpr_read_b32 v16, acc92                      // 
v_accvgpr_read_b32 v20, acc124                     // 
v_accvgpr_read_b32 v24, acc156                     // 
v_accvgpr_read_b32 v28, acc188                     // 
v_accvgpr_read_b32 v32, acc220                     // 
v_accvgpr_read_b32 v36, acc252                     // 
v_accvgpr_read_b32 v9, acc29                       // 
v_accvgpr_read_b32 v13, acc61                      // 
v_accvgpr_read_b32 v17, acc93                      // 
v_accvgpr_read_b32 v21, acc125                     // 
v_accvgpr_read_b32 v25, acc157                     // 
v_accvgpr_read_b32 v29, acc189                     // 
v_accvgpr_read_b32 v33, acc221                     // 
v_accvgpr_read_b32 v37, acc253                     // 
v_accvgpr_read_b32 v10, acc30                      // 
v_accvgpr_read_b32 v14, acc62                      // 
v_accvgpr_read_b32 v18, acc94                      // 
v_accvgpr_read_b32 v22, acc126                     // 
v_accvgpr_read_b32 v26, acc158                     // 
v_accvgpr_read_b32 v30, acc190                     // 
v_accvgpr_read_b32 v34, acc222                     // 
v_accvgpr_read_b32 v38, acc254                     // 
v_accvgpr_read_b32 v11, acc31                      // 
v_accvgpr_read_b32 v15, acc63                      // 
v_accvgpr_read_b32 v19, acc95                      // 
v_accvgpr_read_b32 v23, acc127                     // 
v_accvgpr_read_b32 v27, acc159                     // 
v_accvgpr_read_b32 v31, acc191                     // 
v_accvgpr_read_b32 v35, acc223                     // 
v_accvgpr_read_b32 v39, acc255                     // 
s_nop 1                                            // v_accvgpr read vgpr after write vgpr: 2 wait states
s_mov_b32 s54, 1                                   // which thread need to shfit in this block
_v_cmpx_eq_u32 s[54:55], v7, s54                   // is thread in edge glvw region
s_nop 3                                            // wait for exec mask
v_accvgpr_write_b32 acc24, v8                      // 
v_accvgpr_write_b32 acc56, v12                     // 
v_accvgpr_write_b32 acc88, v16                     // 
v_accvgpr_write_b32 acc120, v20                    // 
v_accvgpr_write_b32 acc152, v24                    // 
v_accvgpr_write_b32 acc184, v28                    // 
v_accvgpr_write_b32 acc216, v32                    // 
v_accvgpr_write_b32 acc248, v36                    // 
v_accvgpr_write_b32 acc25, v9                      // 
v_accvgpr_write_b32 acc57, v13                     // 
v_accvgpr_write_b32 acc89, v17                     // 
v_accvgpr_write_b32 acc121, v21                    // 
v_accvgpr_write_b32 acc153, v25                    // 
v_accvgpr_write_b32 acc185, v29                    // 
v_accvgpr_write_b32 acc217, v33                    // 
v_accvgpr_write_b32 acc249, v37                    // 
v_accvgpr_write_b32 acc26, v10                     // 
v_accvgpr_write_b32 acc58, v14                     // 
v_accvgpr_write_b32 acc90, v18                     // 
v_accvgpr_write_b32 acc122, v22                    // 
v_accvgpr_write_b32 acc154, v26                    // 
v_accvgpr_write_b32 acc186, v30                    // 
v_accvgpr_write_b32 acc218, v34                    // 
v_accvgpr_write_b32 acc250, v38                    // 
v_accvgpr_write_b32 acc27, v11                     // 
v_accvgpr_write_b32 acc59, v15                     // 
v_accvgpr_write_b32 acc91, v19                     // 
v_accvgpr_write_b32 acc123, v23                    // 
v_accvgpr_write_b32 acc155, v27                    // 
v_accvgpr_write_b32 acc187, v31                    // 
v_accvgpr_write_b32 acc219, v35                    // 
v_accvgpr_write_b32 acc251, v39                    // 
s_mov_b64 s[54:55], 0xFFFFFFFFFFFFFFFF             // to restore all threads active
s_or_saveexec_b64 vcc, s[54:55]                    // all threads active
s_nop 3                                            // wait for exec mask
s_branch label_0106                                // done

/******************************************/
/* shift d0 shift=9 glvwblk=0             */
/******************************************/
label_0072:
v_and_b32 v6, 63, v[vgprSerial]                    // permute register between threads
v_lshlrev_b32 v6, 0x2, v6                          // permute register between threads
v_lshrrev_b32 v0, 5, v[vgprSerial]                 // v0 = v[vgprSerial] / 32
v_and_b32 v7, 1, v0                                // v7 = v0 % 2
v_accvgpr_read_b32 v8, acc3                        // 
v_accvgpr_read_b32 v12, acc35                      // 
v_accvgpr_read_b32 v16, acc67                      // 
v_accvgpr_read_b32 v20, acc99                      // 
v_accvgpr_read_b32 v24, acc131                     // 
v_accvgpr_read_b32 v28, acc163                     // 
v_accvgpr_read_b32 v32, acc195                     // 
v_accvgpr_read_b32 v36, acc227                     // 
v_accvgpr_read_b32 v9, acc4                        // 
v_accvgpr_read_b32 v13, acc36                      // 
v_accvgpr_read_b32 v17, acc68                      // 
v_accvgpr_read_b32 v21, acc100                     // 
v_accvgpr_read_b32 v25, acc132                     // 
v_accvgpr_read_b32 v29, acc164                     // 
v_accvgpr_read_b32 v33, acc196                     // 
v_accvgpr_read_b32 v37, acc228                     // 
v_accvgpr_read_b32 v10, acc5                       // 
v_accvgpr_read_b32 v14, acc37                      // 
v_accvgpr_read_b32 v18, acc69                      // 
v_accvgpr_read_b32 v22, acc101                     // 
v_accvgpr_read_b32 v26, acc133                     // 
v_accvgpr_read_b32 v30, acc165                     // 
v_accvgpr_read_b32 v34, acc197                     // 
v_accvgpr_read_b32 v38, acc229                     // 
v_accvgpr_read_b32 v11, acc6                       // 
v_accvgpr_read_b32 v15, acc38                      // 
v_accvgpr_read_b32 v19, acc70                      // 
v_accvgpr_read_b32 v23, acc102                     // 
v_accvgpr_read_b32 v27, acc134                     // 
v_accvgpr_read_b32 v31, acc166                     // 
v_accvgpr_read_b32 v35, acc198                     // 
v_accvgpr_read_b32 v39, acc230                     // 
s_nop 1                                            // v_accvgpr read vgpr after write vgpr: 2 wait states
ds_bpermute_b32 v8, v6, v8, offset:128             // permute edge values
ds_bpermute_b32 v12, v6, v12, offset:128           // permute edge values
ds_bpermute_b32 v16, v6, v16, offset:128           // permute edge values
	;; [unrolled: 1-line block ×7, first 2 shown]
s_waitcnt lgkmcnt(0)                               // wait for swizzle operation
s_mov_b32 s54, 0                                   // which thread need to shfit in this block
_v_cmpx_eq_u32 s[54:55], v7, s54                   // is thread in edge glvw region
s_nop 3                                            // wait for exec mask
v_accvgpr_write_b32 acc0, v8                       // 
v_accvgpr_write_b32 acc32, v12                     // 
v_accvgpr_write_b32 acc64, v16                     // 
v_accvgpr_write_b32 acc96, v20                     // 
v_accvgpr_write_b32 acc128, v24                    // 
v_accvgpr_write_b32 acc160, v28                    // 
v_accvgpr_write_b32 acc192, v32                    // 
v_accvgpr_write_b32 acc224, v36                    // 
v_accvgpr_write_b32 acc1, v9                       // 
v_accvgpr_write_b32 acc33, v13                     // 
v_accvgpr_write_b32 acc65, v17                     // 
v_accvgpr_write_b32 acc97, v21                     // 
v_accvgpr_write_b32 acc129, v25                    // 
v_accvgpr_write_b32 acc161, v29                    // 
v_accvgpr_write_b32 acc193, v33                    // 
v_accvgpr_write_b32 acc225, v37                    // 
v_accvgpr_write_b32 acc2, v10                      // 
v_accvgpr_write_b32 acc34, v14                     // 
v_accvgpr_write_b32 acc66, v18                     // 
v_accvgpr_write_b32 acc98, v22                     // 
v_accvgpr_write_b32 acc130, v26                    // 
v_accvgpr_write_b32 acc162, v30                    // 
v_accvgpr_write_b32 acc194, v34                    // 
v_accvgpr_write_b32 acc226, v38                    // 
v_accvgpr_write_b32 acc3, v11                      // 
v_accvgpr_write_b32 acc35, v15                     // 
v_accvgpr_write_b32 acc67, v19                     // 
v_accvgpr_write_b32 acc99, v23                     // 
v_accvgpr_write_b32 acc131, v27                    // 
v_accvgpr_write_b32 acc163, v31                    // 
v_accvgpr_write_b32 acc195, v35                    // 
v_accvgpr_write_b32 acc227, v39                    // 
s_mov_b64 s[54:55], 0xFFFFFFFFFFFFFFFF             // to restore all threads active
s_or_saveexec_b64 vcc, s[54:55]                    // all threads active
s_nop 3                                            // wait for exec mask
v_accvgpr_read_b32 v8, acc7                        // 
v_accvgpr_read_b32 v12, acc39                      // 
v_accvgpr_read_b32 v16, acc71                      // 
v_accvgpr_read_b32 v20, acc103                     // 
v_accvgpr_read_b32 v24, acc135                     // 
v_accvgpr_read_b32 v28, acc167                     // 
v_accvgpr_read_b32 v32, acc199                     // 
v_accvgpr_read_b32 v36, acc231                     // 
v_accvgpr_read_b32 v9, acc4                        // 
v_accvgpr_read_b32 v13, acc36                      // 
v_accvgpr_read_b32 v17, acc68                      // 
v_accvgpr_read_b32 v21, acc100                     // 
v_accvgpr_read_b32 v25, acc132                     // 
v_accvgpr_read_b32 v29, acc164                     // 
v_accvgpr_read_b32 v33, acc196                     // 
v_accvgpr_read_b32 v37, acc228                     // 
v_accvgpr_read_b32 v10, acc5                       // 
v_accvgpr_read_b32 v14, acc37                      // 
v_accvgpr_read_b32 v18, acc69                      // 
v_accvgpr_read_b32 v22, acc101                     // 
v_accvgpr_read_b32 v26, acc133                     // 
v_accvgpr_read_b32 v30, acc165                     // 
v_accvgpr_read_b32 v34, acc197                     // 
v_accvgpr_read_b32 v38, acc229                     // 
v_accvgpr_read_b32 v11, acc6                       // 
v_accvgpr_read_b32 v15, acc38                      // 
v_accvgpr_read_b32 v19, acc70                      // 
v_accvgpr_read_b32 v23, acc102                     // 
v_accvgpr_read_b32 v27, acc134                     // 
v_accvgpr_read_b32 v31, acc166                     // 
v_accvgpr_read_b32 v35, acc198                     // 
v_accvgpr_read_b32 v39, acc230                     // 
s_nop 1                                            // v_accvgpr read vgpr after write vgpr: 2 wait states
ds_bpermute_b32 v8, v6, v8, offset:128             // permute edge values
ds_bpermute_b32 v12, v6, v12, offset:128           // permute edge values
ds_bpermute_b32 v16, v6, v16, offset:128           // permute edge values
	;; [unrolled: 1-line block ×7, first 2 shown]
s_waitcnt lgkmcnt(0)                               // wait for swizzle operation
s_mov_b32 s54, 1                                   // which thread need to shfit in this block
_v_cmpx_eq_u32 s[54:55], v7, s54                   // is thread in edge glvw region
s_nop 3                                            // wait for exec mask
v_accvgpr_write_b32 acc0, v8                       // 
v_accvgpr_write_b32 acc32, v12                     // 
v_accvgpr_write_b32 acc64, v16                     // 
v_accvgpr_write_b32 acc96, v20                     // 
v_accvgpr_write_b32 acc128, v24                    // 
v_accvgpr_write_b32 acc160, v28                    // 
v_accvgpr_write_b32 acc192, v32                    // 
v_accvgpr_write_b32 acc224, v36                    // 
v_accvgpr_write_b32 acc1, v9                       // 
v_accvgpr_write_b32 acc33, v13                     // 
v_accvgpr_write_b32 acc65, v17                     // 
v_accvgpr_write_b32 acc97, v21                     // 
v_accvgpr_write_b32 acc129, v25                    // 
v_accvgpr_write_b32 acc161, v29                    // 
v_accvgpr_write_b32 acc193, v33                    // 
v_accvgpr_write_b32 acc225, v37                    // 
v_accvgpr_write_b32 acc2, v10                      // 
v_accvgpr_write_b32 acc34, v14                     // 
v_accvgpr_write_b32 acc66, v18                     // 
v_accvgpr_write_b32 acc98, v22                     // 
v_accvgpr_write_b32 acc130, v26                    // 
v_accvgpr_write_b32 acc162, v30                    // 
v_accvgpr_write_b32 acc194, v34                    // 
v_accvgpr_write_b32 acc226, v38                    // 
v_accvgpr_write_b32 acc3, v11                      // 
v_accvgpr_write_b32 acc35, v15                     // 
v_accvgpr_write_b32 acc67, v19                     // 
v_accvgpr_write_b32 acc99, v23                     // 
v_accvgpr_write_b32 acc131, v27                    // 
v_accvgpr_write_b32 acc163, v31                    // 
v_accvgpr_write_b32 acc195, v35                    // 
v_accvgpr_write_b32 acc227, v39                    // 
s_mov_b64 s[54:55], 0xFFFFFFFFFFFFFFFF             // to restore all threads active
s_or_saveexec_b64 vcc, s[54:55]                    // all threads active
s_nop 3                                            // wait for exec mask
v_accvgpr_read_b32 v8, acc7                        // 
v_accvgpr_read_b32 v12, acc39                      // 
v_accvgpr_read_b32 v16, acc71                      // 
v_accvgpr_read_b32 v20, acc103                     // 
v_accvgpr_read_b32 v24, acc135                     // 
v_accvgpr_read_b32 v28, acc167                     // 
v_accvgpr_read_b32 v32, acc199                     // 
v_accvgpr_read_b32 v36, acc231                     // 
s_nop 1                                            // v_accvgpr read vgpr after write vgpr: 2 wait states
ds_bpermute_b32 v8, v6, v8, offset:128             // permute edge values
ds_bpermute_b32 v12, v6, v12, offset:128           // permute edge values
ds_bpermute_b32 v16, v6, v16, offset:128           // permute edge values
	;; [unrolled: 1-line block ×7, first 2 shown]
s_waitcnt lgkmcnt(0)                               // wait for swizzle operation
s_mov_b32 s54, 0                                   // which thread need to shfit in this block
_v_cmpx_eq_u32 s[54:55], v7, s54                   // is thread in edge glvw region
s_nop 3                                            // wait for exec mask
v_accvgpr_write_b32 acc4, v8                       // 
v_accvgpr_write_b32 acc36, v12                     // 
v_accvgpr_write_b32 acc68, v16                     // 
v_accvgpr_write_b32 acc100, v20                    // 
v_accvgpr_write_b32 acc132, v24                    // 
v_accvgpr_write_b32 acc164, v28                    // 
v_accvgpr_write_b32 acc196, v32                    // 
v_accvgpr_write_b32 acc228, v36                    // 
s_mov_b64 s[54:55], 0xFFFFFFFFFFFFFFFF             // to restore all threads active
s_or_saveexec_b64 vcc, s[54:55]                    // all threads active
s_nop 3                                            // wait for exec mask
s_branch label_0106                                // done

/******************************************/
/* shift d0 shift=9 glvwblk=1             */
/******************************************/
label_0073:
v_and_b32 v6, 63, v[vgprSerial]                    // permute register between threads
v_lshlrev_b32 v6, 0x2, v6                          // permute register between threads
v_lshrrev_b32 v0, 5, v[vgprSerial]                 // v0 = v[vgprSerial] / 32
v_and_b32 v7, 1, v0                                // v7 = v0 % 2
v_accvgpr_read_b32 v8, acc11                       // 
v_accvgpr_read_b32 v12, acc43                      // 
v_accvgpr_read_b32 v16, acc75                      // 
v_accvgpr_read_b32 v20, acc107                     // 
v_accvgpr_read_b32 v24, acc139                     // 
v_accvgpr_read_b32 v28, acc171                     // 
v_accvgpr_read_b32 v32, acc203                     // 
v_accvgpr_read_b32 v36, acc235                     // 
v_accvgpr_read_b32 v9, acc12                       // 
v_accvgpr_read_b32 v13, acc44                      // 
v_accvgpr_read_b32 v17, acc76                      // 
v_accvgpr_read_b32 v21, acc108                     // 
v_accvgpr_read_b32 v25, acc140                     // 
v_accvgpr_read_b32 v29, acc172                     // 
v_accvgpr_read_b32 v33, acc204                     // 
v_accvgpr_read_b32 v37, acc236                     // 
v_accvgpr_read_b32 v10, acc13                      // 
v_accvgpr_read_b32 v14, acc45                      // 
v_accvgpr_read_b32 v18, acc77                      // 
v_accvgpr_read_b32 v22, acc109                     // 
v_accvgpr_read_b32 v26, acc141                     // 
v_accvgpr_read_b32 v30, acc173                     // 
v_accvgpr_read_b32 v34, acc205                     // 
v_accvgpr_read_b32 v38, acc237                     // 
v_accvgpr_read_b32 v11, acc14                      // 
v_accvgpr_read_b32 v15, acc46                      // 
v_accvgpr_read_b32 v19, acc78                      // 
v_accvgpr_read_b32 v23, acc110                     // 
v_accvgpr_read_b32 v27, acc142                     // 
v_accvgpr_read_b32 v31, acc174                     // 
v_accvgpr_read_b32 v35, acc206                     // 
v_accvgpr_read_b32 v39, acc238                     // 
s_nop 1                                            // v_accvgpr read vgpr after write vgpr: 2 wait states
ds_bpermute_b32 v8, v6, v8, offset:128             // permute edge values
ds_bpermute_b32 v12, v6, v12, offset:128           // permute edge values
ds_bpermute_b32 v16, v6, v16, offset:128           // permute edge values
	;; [unrolled: 1-line block ×7, first 2 shown]
s_waitcnt lgkmcnt(0)                               // wait for swizzle operation
s_mov_b32 s54, 0                                   // which thread need to shfit in this block
_v_cmpx_eq_u32 s[54:55], v7, s54                   // is thread in edge glvw region
s_nop 3                                            // wait for exec mask
v_accvgpr_write_b32 acc8, v8                       // 
v_accvgpr_write_b32 acc40, v12                     // 
v_accvgpr_write_b32 acc72, v16                     // 
v_accvgpr_write_b32 acc104, v20                    // 
v_accvgpr_write_b32 acc136, v24                    // 
v_accvgpr_write_b32 acc168, v28                    // 
v_accvgpr_write_b32 acc200, v32                    // 
v_accvgpr_write_b32 acc232, v36                    // 
v_accvgpr_write_b32 acc9, v9                       // 
v_accvgpr_write_b32 acc41, v13                     // 
v_accvgpr_write_b32 acc73, v17                     // 
v_accvgpr_write_b32 acc105, v21                    // 
v_accvgpr_write_b32 acc137, v25                    // 
v_accvgpr_write_b32 acc169, v29                    // 
v_accvgpr_write_b32 acc201, v33                    // 
v_accvgpr_write_b32 acc233, v37                    // 
v_accvgpr_write_b32 acc10, v10                     // 
v_accvgpr_write_b32 acc42, v14                     // 
v_accvgpr_write_b32 acc74, v18                     // 
v_accvgpr_write_b32 acc106, v22                    // 
v_accvgpr_write_b32 acc138, v26                    // 
v_accvgpr_write_b32 acc170, v30                    // 
v_accvgpr_write_b32 acc202, v34                    // 
v_accvgpr_write_b32 acc234, v38                    // 
v_accvgpr_write_b32 acc11, v11                     // 
v_accvgpr_write_b32 acc43, v15                     // 
v_accvgpr_write_b32 acc75, v19                     // 
v_accvgpr_write_b32 acc107, v23                    // 
v_accvgpr_write_b32 acc139, v27                    // 
v_accvgpr_write_b32 acc171, v31                    // 
v_accvgpr_write_b32 acc203, v35                    // 
v_accvgpr_write_b32 acc235, v39                    // 
s_mov_b64 s[54:55], 0xFFFFFFFFFFFFFFFF             // to restore all threads active
s_or_saveexec_b64 vcc, s[54:55]                    // all threads active
s_nop 3                                            // wait for exec mask
v_accvgpr_read_b32 v8, acc15                       // 
v_accvgpr_read_b32 v12, acc47                      // 
v_accvgpr_read_b32 v16, acc79                      // 
v_accvgpr_read_b32 v20, acc111                     // 
v_accvgpr_read_b32 v24, acc143                     // 
v_accvgpr_read_b32 v28, acc175                     // 
v_accvgpr_read_b32 v32, acc207                     // 
v_accvgpr_read_b32 v36, acc239                     // 
v_accvgpr_read_b32 v9, acc12                       // 
v_accvgpr_read_b32 v13, acc44                      // 
v_accvgpr_read_b32 v17, acc76                      // 
v_accvgpr_read_b32 v21, acc108                     // 
v_accvgpr_read_b32 v25, acc140                     // 
v_accvgpr_read_b32 v29, acc172                     // 
v_accvgpr_read_b32 v33, acc204                     // 
v_accvgpr_read_b32 v37, acc236                     // 
v_accvgpr_read_b32 v10, acc13                      // 
v_accvgpr_read_b32 v14, acc45                      // 
v_accvgpr_read_b32 v18, acc77                      // 
v_accvgpr_read_b32 v22, acc109                     // 
v_accvgpr_read_b32 v26, acc141                     // 
v_accvgpr_read_b32 v30, acc173                     // 
v_accvgpr_read_b32 v34, acc205                     // 
v_accvgpr_read_b32 v38, acc237                     // 
v_accvgpr_read_b32 v11, acc14                      // 
v_accvgpr_read_b32 v15, acc46                      // 
v_accvgpr_read_b32 v19, acc78                      // 
v_accvgpr_read_b32 v23, acc110                     // 
v_accvgpr_read_b32 v27, acc142                     // 
v_accvgpr_read_b32 v31, acc174                     // 
v_accvgpr_read_b32 v35, acc206                     // 
v_accvgpr_read_b32 v39, acc238                     // 
s_nop 1                                            // v_accvgpr read vgpr after write vgpr: 2 wait states
ds_bpermute_b32 v8, v6, v8, offset:128             // permute edge values
ds_bpermute_b32 v12, v6, v12, offset:128           // permute edge values
ds_bpermute_b32 v16, v6, v16, offset:128           // permute edge values
	;; [unrolled: 1-line block ×7, first 2 shown]
s_waitcnt lgkmcnt(0)                               // wait for swizzle operation
s_mov_b32 s54, 1                                   // which thread need to shfit in this block
_v_cmpx_eq_u32 s[54:55], v7, s54                   // is thread in edge glvw region
s_nop 3                                            // wait for exec mask
v_accvgpr_write_b32 acc8, v8                       // 
v_accvgpr_write_b32 acc40, v12                     // 
v_accvgpr_write_b32 acc72, v16                     // 
v_accvgpr_write_b32 acc104, v20                    // 
v_accvgpr_write_b32 acc136, v24                    // 
v_accvgpr_write_b32 acc168, v28                    // 
v_accvgpr_write_b32 acc200, v32                    // 
v_accvgpr_write_b32 acc232, v36                    // 
v_accvgpr_write_b32 acc9, v9                       // 
v_accvgpr_write_b32 acc41, v13                     // 
v_accvgpr_write_b32 acc73, v17                     // 
v_accvgpr_write_b32 acc105, v21                    // 
v_accvgpr_write_b32 acc137, v25                    // 
v_accvgpr_write_b32 acc169, v29                    // 
v_accvgpr_write_b32 acc201, v33                    // 
v_accvgpr_write_b32 acc233, v37                    // 
v_accvgpr_write_b32 acc10, v10                     // 
v_accvgpr_write_b32 acc42, v14                     // 
v_accvgpr_write_b32 acc74, v18                     // 
v_accvgpr_write_b32 acc106, v22                    // 
v_accvgpr_write_b32 acc138, v26                    // 
v_accvgpr_write_b32 acc170, v30                    // 
v_accvgpr_write_b32 acc202, v34                    // 
v_accvgpr_write_b32 acc234, v38                    // 
v_accvgpr_write_b32 acc11, v11                     // 
v_accvgpr_write_b32 acc43, v15                     // 
v_accvgpr_write_b32 acc75, v19                     // 
v_accvgpr_write_b32 acc107, v23                    // 
v_accvgpr_write_b32 acc139, v27                    // 
v_accvgpr_write_b32 acc171, v31                    // 
v_accvgpr_write_b32 acc203, v35                    // 
v_accvgpr_write_b32 acc235, v39                    // 
s_mov_b64 s[54:55], 0xFFFFFFFFFFFFFFFF             // to restore all threads active
s_or_saveexec_b64 vcc, s[54:55]                    // all threads active
s_nop 3                                            // wait for exec mask
v_accvgpr_read_b32 v8, acc15                       // 
v_accvgpr_read_b32 v12, acc47                      // 
v_accvgpr_read_b32 v16, acc79                      // 
v_accvgpr_read_b32 v20, acc111                     // 
v_accvgpr_read_b32 v24, acc143                     // 
v_accvgpr_read_b32 v28, acc175                     // 
v_accvgpr_read_b32 v32, acc207                     // 
v_accvgpr_read_b32 v36, acc239                     // 
s_nop 1                                            // v_accvgpr read vgpr after write vgpr: 2 wait states
ds_bpermute_b32 v8, v6, v8, offset:128             // permute edge values
ds_bpermute_b32 v12, v6, v12, offset:128           // permute edge values
ds_bpermute_b32 v16, v6, v16, offset:128           // permute edge values
	;; [unrolled: 1-line block ×7, first 2 shown]
s_waitcnt lgkmcnt(0)                               // wait for swizzle operation
s_mov_b32 s54, 0                                   // which thread need to shfit in this block
_v_cmpx_eq_u32 s[54:55], v7, s54                   // is thread in edge glvw region
s_nop 3                                            // wait for exec mask
v_accvgpr_write_b32 acc12, v8                      // 
v_accvgpr_write_b32 acc44, v12                     // 
v_accvgpr_write_b32 acc76, v16                     // 
v_accvgpr_write_b32 acc108, v20                    // 
v_accvgpr_write_b32 acc140, v24                    // 
v_accvgpr_write_b32 acc172, v28                    // 
v_accvgpr_write_b32 acc204, v32                    // 
v_accvgpr_write_b32 acc236, v36                    // 
s_mov_b64 s[54:55], 0xFFFFFFFFFFFFFFFF             // to restore all threads active
s_or_saveexec_b64 vcc, s[54:55]                    // all threads active
s_nop 3                                            // wait for exec mask
s_branch label_0106                                // done

/******************************************/
/* shift d0 shift=9 glvwblk=0             */
/******************************************/
label_0074:
v_and_b32 v6, 63, v[vgprSerial]                    // permute register between threads
v_lshlrev_b32 v6, 0x2, v6                          // permute register between threads
v_lshrrev_b32 v0, 5, v[vgprSerial]                 // v0 = v[vgprSerial] / 32
v_and_b32 v7, 1, v0                                // v7 = v0 % 2
v_accvgpr_read_b32 v8, acc19                       // 
v_accvgpr_read_b32 v12, acc51                      // 
v_accvgpr_read_b32 v16, acc83                      // 
v_accvgpr_read_b32 v20, acc115                     // 
v_accvgpr_read_b32 v24, acc147                     // 
v_accvgpr_read_b32 v28, acc179                     // 
v_accvgpr_read_b32 v32, acc211                     // 
v_accvgpr_read_b32 v36, acc243                     // 
v_accvgpr_read_b32 v9, acc20                       // 
v_accvgpr_read_b32 v13, acc52                      // 
v_accvgpr_read_b32 v17, acc84                      // 
v_accvgpr_read_b32 v21, acc116                     // 
v_accvgpr_read_b32 v25, acc148                     // 
v_accvgpr_read_b32 v29, acc180                     // 
v_accvgpr_read_b32 v33, acc212                     // 
v_accvgpr_read_b32 v37, acc244                     // 
v_accvgpr_read_b32 v10, acc21                      // 
v_accvgpr_read_b32 v14, acc53                      // 
v_accvgpr_read_b32 v18, acc85                      // 
v_accvgpr_read_b32 v22, acc117                     // 
v_accvgpr_read_b32 v26, acc149                     // 
v_accvgpr_read_b32 v30, acc181                     // 
v_accvgpr_read_b32 v34, acc213                     // 
v_accvgpr_read_b32 v38, acc245                     // 
v_accvgpr_read_b32 v11, acc22                      // 
v_accvgpr_read_b32 v15, acc54                      // 
v_accvgpr_read_b32 v19, acc86                      // 
v_accvgpr_read_b32 v23, acc118                     // 
v_accvgpr_read_b32 v27, acc150                     // 
v_accvgpr_read_b32 v31, acc182                     // 
v_accvgpr_read_b32 v35, acc214                     // 
v_accvgpr_read_b32 v39, acc246                     // 
s_nop 1                                            // v_accvgpr read vgpr after write vgpr: 2 wait states
ds_bpermute_b32 v8, v6, v8, offset:128             // permute edge values
ds_bpermute_b32 v12, v6, v12, offset:128           // permute edge values
ds_bpermute_b32 v16, v6, v16, offset:128           // permute edge values
	;; [unrolled: 1-line block ×7, first 2 shown]
s_waitcnt lgkmcnt(0)                               // wait for swizzle operation
s_mov_b32 s54, 0                                   // which thread need to shfit in this block
_v_cmpx_eq_u32 s[54:55], v7, s54                   // is thread in edge glvw region
s_nop 3                                            // wait for exec mask
v_accvgpr_write_b32 acc16, v8                      // 
v_accvgpr_write_b32 acc48, v12                     // 
v_accvgpr_write_b32 acc80, v16                     // 
v_accvgpr_write_b32 acc112, v20                    // 
v_accvgpr_write_b32 acc144, v24                    // 
v_accvgpr_write_b32 acc176, v28                    // 
v_accvgpr_write_b32 acc208, v32                    // 
v_accvgpr_write_b32 acc240, v36                    // 
v_accvgpr_write_b32 acc17, v9                      // 
v_accvgpr_write_b32 acc49, v13                     // 
v_accvgpr_write_b32 acc81, v17                     // 
v_accvgpr_write_b32 acc113, v21                    // 
v_accvgpr_write_b32 acc145, v25                    // 
v_accvgpr_write_b32 acc177, v29                    // 
v_accvgpr_write_b32 acc209, v33                    // 
v_accvgpr_write_b32 acc241, v37                    // 
v_accvgpr_write_b32 acc18, v10                     // 
v_accvgpr_write_b32 acc50, v14                     // 
v_accvgpr_write_b32 acc82, v18                     // 
v_accvgpr_write_b32 acc114, v22                    // 
v_accvgpr_write_b32 acc146, v26                    // 
v_accvgpr_write_b32 acc178, v30                    // 
v_accvgpr_write_b32 acc210, v34                    // 
v_accvgpr_write_b32 acc242, v38                    // 
v_accvgpr_write_b32 acc19, v11                     // 
v_accvgpr_write_b32 acc51, v15                     // 
v_accvgpr_write_b32 acc83, v19                     // 
v_accvgpr_write_b32 acc115, v23                    // 
v_accvgpr_write_b32 acc147, v27                    // 
v_accvgpr_write_b32 acc179, v31                    // 
v_accvgpr_write_b32 acc211, v35                    // 
v_accvgpr_write_b32 acc243, v39                    // 
s_mov_b64 s[54:55], 0xFFFFFFFFFFFFFFFF             // to restore all threads active
s_or_saveexec_b64 vcc, s[54:55]                    // all threads active
s_nop 3                                            // wait for exec mask
v_accvgpr_read_b32 v8, acc23                       // 
v_accvgpr_read_b32 v12, acc55                      // 
v_accvgpr_read_b32 v16, acc87                      // 
v_accvgpr_read_b32 v20, acc119                     // 
v_accvgpr_read_b32 v24, acc151                     // 
v_accvgpr_read_b32 v28, acc183                     // 
v_accvgpr_read_b32 v32, acc215                     // 
v_accvgpr_read_b32 v36, acc247                     // 
v_accvgpr_read_b32 v9, acc20                       // 
v_accvgpr_read_b32 v13, acc52                      // 
v_accvgpr_read_b32 v17, acc84                      // 
v_accvgpr_read_b32 v21, acc116                     // 
v_accvgpr_read_b32 v25, acc148                     // 
v_accvgpr_read_b32 v29, acc180                     // 
v_accvgpr_read_b32 v33, acc212                     // 
v_accvgpr_read_b32 v37, acc244                     // 
v_accvgpr_read_b32 v10, acc21                      // 
v_accvgpr_read_b32 v14, acc53                      // 
v_accvgpr_read_b32 v18, acc85                      // 
v_accvgpr_read_b32 v22, acc117                     // 
v_accvgpr_read_b32 v26, acc149                     // 
v_accvgpr_read_b32 v30, acc181                     // 
v_accvgpr_read_b32 v34, acc213                     // 
v_accvgpr_read_b32 v38, acc245                     // 
v_accvgpr_read_b32 v11, acc22                      // 
v_accvgpr_read_b32 v15, acc54                      // 
v_accvgpr_read_b32 v19, acc86                      // 
v_accvgpr_read_b32 v23, acc118                     // 
v_accvgpr_read_b32 v27, acc150                     // 
v_accvgpr_read_b32 v31, acc182                     // 
v_accvgpr_read_b32 v35, acc214                     // 
v_accvgpr_read_b32 v39, acc246                     // 
s_nop 1                                            // v_accvgpr read vgpr after write vgpr: 2 wait states
ds_bpermute_b32 v8, v6, v8, offset:128             // permute edge values
ds_bpermute_b32 v12, v6, v12, offset:128           // permute edge values
ds_bpermute_b32 v16, v6, v16, offset:128           // permute edge values
	;; [unrolled: 1-line block ×7, first 2 shown]
s_waitcnt lgkmcnt(0)                               // wait for swizzle operation
s_mov_b32 s54, 1                                   // which thread need to shfit in this block
_v_cmpx_eq_u32 s[54:55], v7, s54                   // is thread in edge glvw region
s_nop 3                                            // wait for exec mask
v_accvgpr_write_b32 acc16, v8                      // 
v_accvgpr_write_b32 acc48, v12                     // 
v_accvgpr_write_b32 acc80, v16                     // 
v_accvgpr_write_b32 acc112, v20                    // 
v_accvgpr_write_b32 acc144, v24                    // 
v_accvgpr_write_b32 acc176, v28                    // 
v_accvgpr_write_b32 acc208, v32                    // 
v_accvgpr_write_b32 acc240, v36                    // 
v_accvgpr_write_b32 acc17, v9                      // 
v_accvgpr_write_b32 acc49, v13                     // 
v_accvgpr_write_b32 acc81, v17                     // 
v_accvgpr_write_b32 acc113, v21                    // 
v_accvgpr_write_b32 acc145, v25                    // 
v_accvgpr_write_b32 acc177, v29                    // 
v_accvgpr_write_b32 acc209, v33                    // 
v_accvgpr_write_b32 acc241, v37                    // 
v_accvgpr_write_b32 acc18, v10                     // 
v_accvgpr_write_b32 acc50, v14                     // 
v_accvgpr_write_b32 acc82, v18                     // 
v_accvgpr_write_b32 acc114, v22                    // 
v_accvgpr_write_b32 acc146, v26                    // 
v_accvgpr_write_b32 acc178, v30                    // 
v_accvgpr_write_b32 acc210, v34                    // 
v_accvgpr_write_b32 acc242, v38                    // 
v_accvgpr_write_b32 acc19, v11                     // 
v_accvgpr_write_b32 acc51, v15                     // 
v_accvgpr_write_b32 acc83, v19                     // 
v_accvgpr_write_b32 acc115, v23                    // 
v_accvgpr_write_b32 acc147, v27                    // 
v_accvgpr_write_b32 acc179, v31                    // 
v_accvgpr_write_b32 acc211, v35                    // 
v_accvgpr_write_b32 acc243, v39                    // 
s_mov_b64 s[54:55], 0xFFFFFFFFFFFFFFFF             // to restore all threads active
s_or_saveexec_b64 vcc, s[54:55]                    // all threads active
s_nop 3                                            // wait for exec mask
v_accvgpr_read_b32 v8, acc23                       // 
v_accvgpr_read_b32 v12, acc55                      // 
v_accvgpr_read_b32 v16, acc87                      // 
v_accvgpr_read_b32 v20, acc119                     // 
v_accvgpr_read_b32 v24, acc151                     // 
v_accvgpr_read_b32 v28, acc183                     // 
v_accvgpr_read_b32 v32, acc215                     // 
v_accvgpr_read_b32 v36, acc247                     // 
s_nop 1                                            // v_accvgpr read vgpr after write vgpr: 2 wait states
ds_bpermute_b32 v8, v6, v8, offset:128             // permute edge values
ds_bpermute_b32 v12, v6, v12, offset:128           // permute edge values
ds_bpermute_b32 v16, v6, v16, offset:128           // permute edge values
	;; [unrolled: 1-line block ×7, first 2 shown]
s_waitcnt lgkmcnt(0)                               // wait for swizzle operation
s_mov_b32 s54, 0                                   // which thread need to shfit in this block
_v_cmpx_eq_u32 s[54:55], v7, s54                   // is thread in edge glvw region
s_nop 3                                            // wait for exec mask
v_accvgpr_write_b32 acc20, v8                      // 
v_accvgpr_write_b32 acc52, v12                     // 
v_accvgpr_write_b32 acc84, v16                     // 
v_accvgpr_write_b32 acc116, v20                    // 
v_accvgpr_write_b32 acc148, v24                    // 
v_accvgpr_write_b32 acc180, v28                    // 
v_accvgpr_write_b32 acc212, v32                    // 
v_accvgpr_write_b32 acc244, v36                    // 
s_mov_b64 s[54:55], 0xFFFFFFFFFFFFFFFF             // to restore all threads active
s_or_saveexec_b64 vcc, s[54:55]                    // all threads active
s_nop 3                                            // wait for exec mask
s_branch label_0106                                // done

/******************************************/
/* shift d0 shift=9 glvwblk=1             */
/******************************************/
label_0075:
v_and_b32 v6, 63, v[vgprSerial]                    // permute register between threads
v_lshlrev_b32 v6, 0x2, v6                          // permute register between threads
v_lshrrev_b32 v0, 5, v[vgprSerial]                 // v0 = v[vgprSerial] / 32
v_and_b32 v7, 1, v0                                // v7 = v0 % 2
v_accvgpr_read_b32 v8, acc27                       // 
v_accvgpr_read_b32 v12, acc59                      // 
v_accvgpr_read_b32 v16, acc91                      // 
v_accvgpr_read_b32 v20, acc123                     // 
v_accvgpr_read_b32 v24, acc155                     // 
v_accvgpr_read_b32 v28, acc187                     // 
v_accvgpr_read_b32 v32, acc219                     // 
v_accvgpr_read_b32 v36, acc251                     // 
v_accvgpr_read_b32 v9, acc28                       // 
v_accvgpr_read_b32 v13, acc60                      // 
v_accvgpr_read_b32 v17, acc92                      // 
v_accvgpr_read_b32 v21, acc124                     // 
v_accvgpr_read_b32 v25, acc156                     // 
v_accvgpr_read_b32 v29, acc188                     // 
v_accvgpr_read_b32 v33, acc220                     // 
v_accvgpr_read_b32 v37, acc252                     // 
v_accvgpr_read_b32 v10, acc29                      // 
v_accvgpr_read_b32 v14, acc61                      // 
v_accvgpr_read_b32 v18, acc93                      // 
v_accvgpr_read_b32 v22, acc125                     // 
v_accvgpr_read_b32 v26, acc157                     // 
v_accvgpr_read_b32 v30, acc189                     // 
v_accvgpr_read_b32 v34, acc221                     // 
v_accvgpr_read_b32 v38, acc253                     // 
v_accvgpr_read_b32 v11, acc30                      // 
v_accvgpr_read_b32 v15, acc62                      // 
v_accvgpr_read_b32 v19, acc94                      // 
v_accvgpr_read_b32 v23, acc126                     // 
v_accvgpr_read_b32 v27, acc158                     // 
v_accvgpr_read_b32 v31, acc190                     // 
v_accvgpr_read_b32 v35, acc222                     // 
v_accvgpr_read_b32 v39, acc254                     // 
s_nop 1                                            // v_accvgpr read vgpr after write vgpr: 2 wait states
ds_bpermute_b32 v8, v6, v8, offset:128             // permute edge values
ds_bpermute_b32 v12, v6, v12, offset:128           // permute edge values
ds_bpermute_b32 v16, v6, v16, offset:128           // permute edge values
	;; [unrolled: 1-line block ×7, first 2 shown]
s_waitcnt lgkmcnt(0)                               // wait for swizzle operation
s_mov_b32 s54, 0                                   // which thread need to shfit in this block
_v_cmpx_eq_u32 s[54:55], v7, s54                   // is thread in edge glvw region
s_nop 3                                            // wait for exec mask
v_accvgpr_write_b32 acc24, v8                      // 
v_accvgpr_write_b32 acc56, v12                     // 
v_accvgpr_write_b32 acc88, v16                     // 
v_accvgpr_write_b32 acc120, v20                    // 
v_accvgpr_write_b32 acc152, v24                    // 
v_accvgpr_write_b32 acc184, v28                    // 
v_accvgpr_write_b32 acc216, v32                    // 
v_accvgpr_write_b32 acc248, v36                    // 
v_accvgpr_write_b32 acc25, v9                      // 
v_accvgpr_write_b32 acc57, v13                     // 
v_accvgpr_write_b32 acc89, v17                     // 
v_accvgpr_write_b32 acc121, v21                    // 
v_accvgpr_write_b32 acc153, v25                    // 
v_accvgpr_write_b32 acc185, v29                    // 
v_accvgpr_write_b32 acc217, v33                    // 
v_accvgpr_write_b32 acc249, v37                    // 
v_accvgpr_write_b32 acc26, v10                     // 
v_accvgpr_write_b32 acc58, v14                     // 
v_accvgpr_write_b32 acc90, v18                     // 
v_accvgpr_write_b32 acc122, v22                    // 
v_accvgpr_write_b32 acc154, v26                    // 
v_accvgpr_write_b32 acc186, v30                    // 
v_accvgpr_write_b32 acc218, v34                    // 
v_accvgpr_write_b32 acc250, v38                    // 
v_accvgpr_write_b32 acc27, v11                     // 
v_accvgpr_write_b32 acc59, v15                     // 
v_accvgpr_write_b32 acc91, v19                     // 
v_accvgpr_write_b32 acc123, v23                    // 
v_accvgpr_write_b32 acc155, v27                    // 
v_accvgpr_write_b32 acc187, v31                    // 
v_accvgpr_write_b32 acc219, v35                    // 
v_accvgpr_write_b32 acc251, v39                    // 
s_mov_b64 s[54:55], 0xFFFFFFFFFFFFFFFF             // to restore all threads active
s_or_saveexec_b64 vcc, s[54:55]                    // all threads active
s_nop 3                                            // wait for exec mask
v_accvgpr_read_b32 v8, acc31                       // 
v_accvgpr_read_b32 v12, acc63                      // 
v_accvgpr_read_b32 v16, acc95                      // 
v_accvgpr_read_b32 v20, acc127                     // 
v_accvgpr_read_b32 v24, acc159                     // 
v_accvgpr_read_b32 v28, acc191                     // 
v_accvgpr_read_b32 v32, acc223                     // 
v_accvgpr_read_b32 v36, acc255                     // 
v_accvgpr_read_b32 v9, acc28                       // 
v_accvgpr_read_b32 v13, acc60                      // 
v_accvgpr_read_b32 v17, acc92                      // 
v_accvgpr_read_b32 v21, acc124                     // 
v_accvgpr_read_b32 v25, acc156                     // 
v_accvgpr_read_b32 v29, acc188                     // 
v_accvgpr_read_b32 v33, acc220                     // 
v_accvgpr_read_b32 v37, acc252                     // 
v_accvgpr_read_b32 v10, acc29                      // 
v_accvgpr_read_b32 v14, acc61                      // 
v_accvgpr_read_b32 v18, acc93                      // 
v_accvgpr_read_b32 v22, acc125                     // 
v_accvgpr_read_b32 v26, acc157                     // 
v_accvgpr_read_b32 v30, acc189                     // 
v_accvgpr_read_b32 v34, acc221                     // 
v_accvgpr_read_b32 v38, acc253                     // 
v_accvgpr_read_b32 v11, acc30                      // 
v_accvgpr_read_b32 v15, acc62                      // 
v_accvgpr_read_b32 v19, acc94                      // 
v_accvgpr_read_b32 v23, acc126                     // 
v_accvgpr_read_b32 v27, acc158                     // 
v_accvgpr_read_b32 v31, acc190                     // 
v_accvgpr_read_b32 v35, acc222                     // 
v_accvgpr_read_b32 v39, acc254                     // 
s_nop 1                                            // v_accvgpr read vgpr after write vgpr: 2 wait states
ds_bpermute_b32 v8, v6, v8, offset:128             // permute edge values
ds_bpermute_b32 v12, v6, v12, offset:128           // permute edge values
ds_bpermute_b32 v16, v6, v16, offset:128           // permute edge values
	;; [unrolled: 1-line block ×7, first 2 shown]
s_waitcnt lgkmcnt(0)                               // wait for swizzle operation
s_mov_b32 s54, 1                                   // which thread need to shfit in this block
_v_cmpx_eq_u32 s[54:55], v7, s54                   // is thread in edge glvw region
s_nop 3                                            // wait for exec mask
v_accvgpr_write_b32 acc24, v8                      // 
v_accvgpr_write_b32 acc56, v12                     // 
v_accvgpr_write_b32 acc88, v16                     // 
v_accvgpr_write_b32 acc120, v20                    // 
v_accvgpr_write_b32 acc152, v24                    // 
v_accvgpr_write_b32 acc184, v28                    // 
v_accvgpr_write_b32 acc216, v32                    // 
v_accvgpr_write_b32 acc248, v36                    // 
v_accvgpr_write_b32 acc25, v9                      // 
v_accvgpr_write_b32 acc57, v13                     // 
v_accvgpr_write_b32 acc89, v17                     // 
v_accvgpr_write_b32 acc121, v21                    // 
v_accvgpr_write_b32 acc153, v25                    // 
v_accvgpr_write_b32 acc185, v29                    // 
v_accvgpr_write_b32 acc217, v33                    // 
v_accvgpr_write_b32 acc249, v37                    // 
v_accvgpr_write_b32 acc26, v10                     // 
v_accvgpr_write_b32 acc58, v14                     // 
v_accvgpr_write_b32 acc90, v18                     // 
v_accvgpr_write_b32 acc122, v22                    // 
v_accvgpr_write_b32 acc154, v26                    // 
v_accvgpr_write_b32 acc186, v30                    // 
v_accvgpr_write_b32 acc218, v34                    // 
v_accvgpr_write_b32 acc250, v38                    // 
v_accvgpr_write_b32 acc27, v11                     // 
v_accvgpr_write_b32 acc59, v15                     // 
v_accvgpr_write_b32 acc91, v19                     // 
v_accvgpr_write_b32 acc123, v23                    // 
v_accvgpr_write_b32 acc155, v27                    // 
v_accvgpr_write_b32 acc187, v31                    // 
v_accvgpr_write_b32 acc219, v35                    // 
v_accvgpr_write_b32 acc251, v39                    // 
s_mov_b64 s[54:55], 0xFFFFFFFFFFFFFFFF             // to restore all threads active
s_or_saveexec_b64 vcc, s[54:55]                    // all threads active
s_nop 3                                            // wait for exec mask
v_accvgpr_read_b32 v8, acc31                       // 
v_accvgpr_read_b32 v12, acc63                      // 
v_accvgpr_read_b32 v16, acc95                      // 
v_accvgpr_read_b32 v20, acc127                     // 
v_accvgpr_read_b32 v24, acc159                     // 
v_accvgpr_read_b32 v28, acc191                     // 
v_accvgpr_read_b32 v32, acc223                     // 
v_accvgpr_read_b32 v36, acc255                     // 
s_nop 1                                            // v_accvgpr read vgpr after write vgpr: 2 wait states
ds_bpermute_b32 v8, v6, v8, offset:128             // permute edge values
ds_bpermute_b32 v12, v6, v12, offset:128           // permute edge values
ds_bpermute_b32 v16, v6, v16, offset:128           // permute edge values
ds_bpermute_b32 v20, v6, v20, offset:128           // permute edge values
ds_bpermute_b32 v24, v6, v24, offset:128           // permute edge values
ds_bpermute_b32 v28, v6, v28, offset:128           // permute edge values
ds_bpermute_b32 v32, v6, v32, offset:128           // permute edge values
ds_bpermute_b32 v36, v6, v36, offset:128           // permute edge values
s_waitcnt lgkmcnt(0)                               // wait for swizzle operation
s_mov_b32 s54, 0                                   // which thread need to shfit in this block
_v_cmpx_eq_u32 s[54:55], v7, s54                   // is thread in edge glvw region
s_nop 3                                            // wait for exec mask
v_accvgpr_write_b32 acc28, v8                      // 
v_accvgpr_write_b32 acc60, v12                     // 
v_accvgpr_write_b32 acc92, v16                     // 
v_accvgpr_write_b32 acc124, v20                    // 
v_accvgpr_write_b32 acc156, v24                    // 
v_accvgpr_write_b32 acc188, v28                    // 
v_accvgpr_write_b32 acc220, v32                    // 
v_accvgpr_write_b32 acc252, v36                    // 
s_mov_b64 s[54:55], 0xFFFFFFFFFFFFFFFF             // to restore all threads active
s_or_saveexec_b64 vcc, s[54:55]                    // all threads active
s_nop 3                                            // wait for exec mask
s_branch label_0106                                // done

/******************************************/
/* shift d0 shift=10 glvwblk=0            */
/******************************************/
label_0077:
v_and_b32 v6, 63, v[vgprSerial]                    // permute register between threads
v_lshlrev_b32 v6, 0x2, v6                          // permute register between threads
v_lshrrev_b32 v0, 5, v[vgprSerial]                 // v0 = v[vgprSerial] / 32
v_and_b32 v7, 1, v0                                // v7 = v0 % 2
v_accvgpr_read_b32 v8, acc2                        // 
v_accvgpr_read_b32 v12, acc34                      // 
v_accvgpr_read_b32 v16, acc66                      // 
v_accvgpr_read_b32 v20, acc98                      // 
v_accvgpr_read_b32 v24, acc130                     // 
v_accvgpr_read_b32 v28, acc162                     // 
v_accvgpr_read_b32 v32, acc194                     // 
v_accvgpr_read_b32 v36, acc226                     // 
v_accvgpr_read_b32 v9, acc3                        // 
v_accvgpr_read_b32 v13, acc35                      // 
v_accvgpr_read_b32 v17, acc67                      // 
v_accvgpr_read_b32 v21, acc99                      // 
v_accvgpr_read_b32 v25, acc131                     // 
v_accvgpr_read_b32 v29, acc163                     // 
v_accvgpr_read_b32 v33, acc195                     // 
v_accvgpr_read_b32 v37, acc227                     // 
v_accvgpr_read_b32 v10, acc4                       // 
v_accvgpr_read_b32 v14, acc36                      // 
v_accvgpr_read_b32 v18, acc68                      // 
v_accvgpr_read_b32 v22, acc100                     // 
v_accvgpr_read_b32 v26, acc132                     // 
v_accvgpr_read_b32 v30, acc164                     // 
v_accvgpr_read_b32 v34, acc196                     // 
v_accvgpr_read_b32 v38, acc228                     // 
v_accvgpr_read_b32 v11, acc5                       // 
v_accvgpr_read_b32 v15, acc37                      // 
v_accvgpr_read_b32 v19, acc69                      // 
v_accvgpr_read_b32 v23, acc101                     // 
v_accvgpr_read_b32 v27, acc133                     // 
v_accvgpr_read_b32 v31, acc165                     // 
v_accvgpr_read_b32 v35, acc197                     // 
v_accvgpr_read_b32 v39, acc229                     // 
s_nop 1                                            // v_accvgpr read vgpr after write vgpr: 2 wait states
ds_bpermute_b32 v8, v6, v8, offset:128             // permute edge values
ds_bpermute_b32 v12, v6, v12, offset:128           // permute edge values
ds_bpermute_b32 v16, v6, v16, offset:128           // permute edge values
	;; [unrolled: 1-line block ×7, first 2 shown]
ds_bpermute_b32 v9, v6, v9, offset:128             // permute edge values
ds_bpermute_b32 v13, v6, v13, offset:128           // permute edge values
ds_bpermute_b32 v17, v6, v17, offset:128           // permute edge values
	;; [unrolled: 1-line block ×7, first 2 shown]
s_waitcnt lgkmcnt(0)                               // wait for swizzle operation
s_mov_b32 s54, 0                                   // which thread need to shfit in this block
_v_cmpx_eq_u32 s[54:55], v7, s54                   // is thread in edge glvw region
s_nop 3                                            // wait for exec mask
v_accvgpr_write_b32 acc0, v8                       // 
v_accvgpr_write_b32 acc32, v12                     // 
v_accvgpr_write_b32 acc64, v16                     // 
v_accvgpr_write_b32 acc96, v20                     // 
v_accvgpr_write_b32 acc128, v24                    // 
v_accvgpr_write_b32 acc160, v28                    // 
v_accvgpr_write_b32 acc192, v32                    // 
v_accvgpr_write_b32 acc224, v36                    // 
v_accvgpr_write_b32 acc1, v9                       // 
v_accvgpr_write_b32 acc33, v13                     // 
v_accvgpr_write_b32 acc65, v17                     // 
v_accvgpr_write_b32 acc97, v21                     // 
v_accvgpr_write_b32 acc129, v25                    // 
v_accvgpr_write_b32 acc161, v29                    // 
v_accvgpr_write_b32 acc193, v33                    // 
v_accvgpr_write_b32 acc225, v37                    // 
v_accvgpr_write_b32 acc2, v10                      // 
v_accvgpr_write_b32 acc34, v14                     // 
v_accvgpr_write_b32 acc66, v18                     // 
v_accvgpr_write_b32 acc98, v22                     // 
v_accvgpr_write_b32 acc130, v26                    // 
v_accvgpr_write_b32 acc162, v30                    // 
v_accvgpr_write_b32 acc194, v34                    // 
v_accvgpr_write_b32 acc226, v38                    // 
v_accvgpr_write_b32 acc3, v11                      // 
v_accvgpr_write_b32 acc35, v15                     // 
v_accvgpr_write_b32 acc67, v19                     // 
v_accvgpr_write_b32 acc99, v23                     // 
v_accvgpr_write_b32 acc131, v27                    // 
v_accvgpr_write_b32 acc163, v31                    // 
v_accvgpr_write_b32 acc195, v35                    // 
v_accvgpr_write_b32 acc227, v39                    // 
s_mov_b64 s[54:55], 0xFFFFFFFFFFFFFFFF             // to restore all threads active
s_or_saveexec_b64 vcc, s[54:55]                    // all threads active
s_nop 3                                            // wait for exec mask
v_accvgpr_read_b32 v8, acc6                        // 
v_accvgpr_read_b32 v12, acc38                      // 
v_accvgpr_read_b32 v16, acc70                      // 
v_accvgpr_read_b32 v20, acc102                     // 
v_accvgpr_read_b32 v24, acc134                     // 
v_accvgpr_read_b32 v28, acc166                     // 
v_accvgpr_read_b32 v32, acc198                     // 
v_accvgpr_read_b32 v36, acc230                     // 
v_accvgpr_read_b32 v9, acc7                        // 
v_accvgpr_read_b32 v13, acc39                      // 
v_accvgpr_read_b32 v17, acc71                      // 
v_accvgpr_read_b32 v21, acc103                     // 
v_accvgpr_read_b32 v25, acc135                     // 
v_accvgpr_read_b32 v29, acc167                     // 
v_accvgpr_read_b32 v33, acc199                     // 
v_accvgpr_read_b32 v37, acc231                     // 
v_accvgpr_read_b32 v10, acc4                       // 
v_accvgpr_read_b32 v14, acc36                      // 
v_accvgpr_read_b32 v18, acc68                      // 
v_accvgpr_read_b32 v22, acc100                     // 
v_accvgpr_read_b32 v26, acc132                     // 
v_accvgpr_read_b32 v30, acc164                     // 
v_accvgpr_read_b32 v34, acc196                     // 
v_accvgpr_read_b32 v38, acc228                     // 
v_accvgpr_read_b32 v11, acc5                       // 
v_accvgpr_read_b32 v15, acc37                      // 
v_accvgpr_read_b32 v19, acc69                      // 
v_accvgpr_read_b32 v23, acc101                     // 
v_accvgpr_read_b32 v27, acc133                     // 
v_accvgpr_read_b32 v31, acc165                     // 
v_accvgpr_read_b32 v35, acc197                     // 
v_accvgpr_read_b32 v39, acc229                     // 
s_nop 1                                            // v_accvgpr read vgpr after write vgpr: 2 wait states
ds_bpermute_b32 v8, v6, v8, offset:128             // permute edge values
ds_bpermute_b32 v12, v6, v12, offset:128           // permute edge values
ds_bpermute_b32 v16, v6, v16, offset:128           // permute edge values
	;; [unrolled: 1-line block ×7, first 2 shown]
ds_bpermute_b32 v9, v6, v9, offset:128             // permute edge values
ds_bpermute_b32 v13, v6, v13, offset:128           // permute edge values
ds_bpermute_b32 v17, v6, v17, offset:128           // permute edge values
	;; [unrolled: 1-line block ×7, first 2 shown]
s_waitcnt lgkmcnt(0)                               // wait for swizzle operation
s_mov_b32 s54, 1                                   // which thread need to shfit in this block
_v_cmpx_eq_u32 s[54:55], v7, s54                   // is thread in edge glvw region
s_nop 3                                            // wait for exec mask
v_accvgpr_write_b32 acc0, v8                       // 
v_accvgpr_write_b32 acc32, v12                     // 
v_accvgpr_write_b32 acc64, v16                     // 
v_accvgpr_write_b32 acc96, v20                     // 
v_accvgpr_write_b32 acc128, v24                    // 
v_accvgpr_write_b32 acc160, v28                    // 
v_accvgpr_write_b32 acc192, v32                    // 
v_accvgpr_write_b32 acc224, v36                    // 
v_accvgpr_write_b32 acc1, v9                       // 
v_accvgpr_write_b32 acc33, v13                     // 
v_accvgpr_write_b32 acc65, v17                     // 
v_accvgpr_write_b32 acc97, v21                     // 
v_accvgpr_write_b32 acc129, v25                    // 
v_accvgpr_write_b32 acc161, v29                    // 
v_accvgpr_write_b32 acc193, v33                    // 
v_accvgpr_write_b32 acc225, v37                    // 
v_accvgpr_write_b32 acc2, v10                      // 
v_accvgpr_write_b32 acc34, v14                     // 
v_accvgpr_write_b32 acc66, v18                     // 
v_accvgpr_write_b32 acc98, v22                     // 
v_accvgpr_write_b32 acc130, v26                    // 
v_accvgpr_write_b32 acc162, v30                    // 
v_accvgpr_write_b32 acc194, v34                    // 
v_accvgpr_write_b32 acc226, v38                    // 
v_accvgpr_write_b32 acc3, v11                      // 
v_accvgpr_write_b32 acc35, v15                     // 
v_accvgpr_write_b32 acc67, v19                     // 
v_accvgpr_write_b32 acc99, v23                     // 
v_accvgpr_write_b32 acc131, v27                    // 
v_accvgpr_write_b32 acc163, v31                    // 
v_accvgpr_write_b32 acc195, v35                    // 
v_accvgpr_write_b32 acc227, v39                    // 
s_mov_b64 s[54:55], 0xFFFFFFFFFFFFFFFF             // to restore all threads active
s_or_saveexec_b64 vcc, s[54:55]                    // all threads active
s_nop 3                                            // wait for exec mask
v_accvgpr_read_b32 v8, acc6                        // 
v_accvgpr_read_b32 v12, acc38                      // 
v_accvgpr_read_b32 v16, acc70                      // 
v_accvgpr_read_b32 v20, acc102                     // 
v_accvgpr_read_b32 v24, acc134                     // 
v_accvgpr_read_b32 v28, acc166                     // 
v_accvgpr_read_b32 v32, acc198                     // 
v_accvgpr_read_b32 v36, acc230                     // 
v_accvgpr_read_b32 v9, acc7                        // 
v_accvgpr_read_b32 v13, acc39                      // 
v_accvgpr_read_b32 v17, acc71                      // 
v_accvgpr_read_b32 v21, acc103                     // 
v_accvgpr_read_b32 v25, acc135                     // 
v_accvgpr_read_b32 v29, acc167                     // 
v_accvgpr_read_b32 v33, acc199                     // 
v_accvgpr_read_b32 v37, acc231                     // 
s_nop 1                                            // v_accvgpr read vgpr after write vgpr: 2 wait states
ds_bpermute_b32 v8, v6, v8, offset:128             // permute edge values
ds_bpermute_b32 v12, v6, v12, offset:128           // permute edge values
ds_bpermute_b32 v16, v6, v16, offset:128           // permute edge values
	;; [unrolled: 1-line block ×7, first 2 shown]
ds_bpermute_b32 v9, v6, v9, offset:128             // permute edge values
ds_bpermute_b32 v13, v6, v13, offset:128           // permute edge values
ds_bpermute_b32 v17, v6, v17, offset:128           // permute edge values
	;; [unrolled: 1-line block ×7, first 2 shown]
s_waitcnt lgkmcnt(0)                               // wait for swizzle operation
s_mov_b32 s54, 0                                   // which thread need to shfit in this block
_v_cmpx_eq_u32 s[54:55], v7, s54                   // is thread in edge glvw region
s_nop 3                                            // wait for exec mask
v_accvgpr_write_b32 acc4, v8                       // 
v_accvgpr_write_b32 acc36, v12                     // 
v_accvgpr_write_b32 acc68, v16                     // 
v_accvgpr_write_b32 acc100, v20                    // 
v_accvgpr_write_b32 acc132, v24                    // 
v_accvgpr_write_b32 acc164, v28                    // 
v_accvgpr_write_b32 acc196, v32                    // 
v_accvgpr_write_b32 acc228, v36                    // 
v_accvgpr_write_b32 acc5, v9                       // 
v_accvgpr_write_b32 acc37, v13                     // 
v_accvgpr_write_b32 acc69, v17                     // 
v_accvgpr_write_b32 acc101, v21                    // 
v_accvgpr_write_b32 acc133, v25                    // 
v_accvgpr_write_b32 acc165, v29                    // 
v_accvgpr_write_b32 acc197, v33                    // 
v_accvgpr_write_b32 acc229, v37                    // 
s_mov_b64 s[54:55], 0xFFFFFFFFFFFFFFFF             // to restore all threads active
s_or_saveexec_b64 vcc, s[54:55]                    // all threads active
s_nop 3                                            // wait for exec mask
s_branch label_0106                                // done

/******************************************/
/* shift d0 shift=10 glvwblk=1            */
/******************************************/
label_0078:
v_and_b32 v6, 63, v[vgprSerial]                    // permute register between threads
v_lshlrev_b32 v6, 0x2, v6                          // permute register between threads
v_lshrrev_b32 v0, 5, v[vgprSerial]                 // v0 = v[vgprSerial] / 32
v_and_b32 v7, 1, v0                                // v7 = v0 % 2
v_accvgpr_read_b32 v8, acc10                       // 
v_accvgpr_read_b32 v12, acc42                      // 
v_accvgpr_read_b32 v16, acc74                      // 
v_accvgpr_read_b32 v20, acc106                     // 
v_accvgpr_read_b32 v24, acc138                     // 
v_accvgpr_read_b32 v28, acc170                     // 
v_accvgpr_read_b32 v32, acc202                     // 
v_accvgpr_read_b32 v36, acc234                     // 
v_accvgpr_read_b32 v9, acc11                       // 
v_accvgpr_read_b32 v13, acc43                      // 
v_accvgpr_read_b32 v17, acc75                      // 
v_accvgpr_read_b32 v21, acc107                     // 
v_accvgpr_read_b32 v25, acc139                     // 
v_accvgpr_read_b32 v29, acc171                     // 
v_accvgpr_read_b32 v33, acc203                     // 
v_accvgpr_read_b32 v37, acc235                     // 
v_accvgpr_read_b32 v10, acc12                      // 
v_accvgpr_read_b32 v14, acc44                      // 
v_accvgpr_read_b32 v18, acc76                      // 
v_accvgpr_read_b32 v22, acc108                     // 
v_accvgpr_read_b32 v26, acc140                     // 
v_accvgpr_read_b32 v30, acc172                     // 
v_accvgpr_read_b32 v34, acc204                     // 
v_accvgpr_read_b32 v38, acc236                     // 
v_accvgpr_read_b32 v11, acc13                      // 
v_accvgpr_read_b32 v15, acc45                      // 
v_accvgpr_read_b32 v19, acc77                      // 
v_accvgpr_read_b32 v23, acc109                     // 
v_accvgpr_read_b32 v27, acc141                     // 
v_accvgpr_read_b32 v31, acc173                     // 
v_accvgpr_read_b32 v35, acc205                     // 
v_accvgpr_read_b32 v39, acc237                     // 
s_nop 1                                            // v_accvgpr read vgpr after write vgpr: 2 wait states
ds_bpermute_b32 v8, v6, v8, offset:128             // permute edge values
ds_bpermute_b32 v12, v6, v12, offset:128           // permute edge values
ds_bpermute_b32 v16, v6, v16, offset:128           // permute edge values
	;; [unrolled: 1-line block ×7, first 2 shown]
ds_bpermute_b32 v9, v6, v9, offset:128             // permute edge values
ds_bpermute_b32 v13, v6, v13, offset:128           // permute edge values
ds_bpermute_b32 v17, v6, v17, offset:128           // permute edge values
	;; [unrolled: 1-line block ×7, first 2 shown]
s_waitcnt lgkmcnt(0)                               // wait for swizzle operation
s_mov_b32 s54, 0                                   // which thread need to shfit in this block
_v_cmpx_eq_u32 s[54:55], v7, s54                   // is thread in edge glvw region
s_nop 3                                            // wait for exec mask
v_accvgpr_write_b32 acc8, v8                       // 
v_accvgpr_write_b32 acc40, v12                     // 
v_accvgpr_write_b32 acc72, v16                     // 
v_accvgpr_write_b32 acc104, v20                    // 
v_accvgpr_write_b32 acc136, v24                    // 
v_accvgpr_write_b32 acc168, v28                    // 
v_accvgpr_write_b32 acc200, v32                    // 
v_accvgpr_write_b32 acc232, v36                    // 
v_accvgpr_write_b32 acc9, v9                       // 
v_accvgpr_write_b32 acc41, v13                     // 
v_accvgpr_write_b32 acc73, v17                     // 
v_accvgpr_write_b32 acc105, v21                    // 
v_accvgpr_write_b32 acc137, v25                    // 
v_accvgpr_write_b32 acc169, v29                    // 
v_accvgpr_write_b32 acc201, v33                    // 
v_accvgpr_write_b32 acc233, v37                    // 
v_accvgpr_write_b32 acc10, v10                     // 
v_accvgpr_write_b32 acc42, v14                     // 
v_accvgpr_write_b32 acc74, v18                     // 
v_accvgpr_write_b32 acc106, v22                    // 
v_accvgpr_write_b32 acc138, v26                    // 
v_accvgpr_write_b32 acc170, v30                    // 
v_accvgpr_write_b32 acc202, v34                    // 
v_accvgpr_write_b32 acc234, v38                    // 
v_accvgpr_write_b32 acc11, v11                     // 
v_accvgpr_write_b32 acc43, v15                     // 
v_accvgpr_write_b32 acc75, v19                     // 
v_accvgpr_write_b32 acc107, v23                    // 
v_accvgpr_write_b32 acc139, v27                    // 
v_accvgpr_write_b32 acc171, v31                    // 
v_accvgpr_write_b32 acc203, v35                    // 
v_accvgpr_write_b32 acc235, v39                    // 
s_mov_b64 s[54:55], 0xFFFFFFFFFFFFFFFF             // to restore all threads active
s_or_saveexec_b64 vcc, s[54:55]                    // all threads active
s_nop 3                                            // wait for exec mask
v_accvgpr_read_b32 v8, acc14                       // 
v_accvgpr_read_b32 v12, acc46                      // 
v_accvgpr_read_b32 v16, acc78                      // 
v_accvgpr_read_b32 v20, acc110                     // 
v_accvgpr_read_b32 v24, acc142                     // 
v_accvgpr_read_b32 v28, acc174                     // 
v_accvgpr_read_b32 v32, acc206                     // 
v_accvgpr_read_b32 v36, acc238                     // 
v_accvgpr_read_b32 v9, acc15                       // 
v_accvgpr_read_b32 v13, acc47                      // 
v_accvgpr_read_b32 v17, acc79                      // 
v_accvgpr_read_b32 v21, acc111                     // 
v_accvgpr_read_b32 v25, acc143                     // 
v_accvgpr_read_b32 v29, acc175                     // 
v_accvgpr_read_b32 v33, acc207                     // 
v_accvgpr_read_b32 v37, acc239                     // 
v_accvgpr_read_b32 v10, acc12                      // 
v_accvgpr_read_b32 v14, acc44                      // 
v_accvgpr_read_b32 v18, acc76                      // 
v_accvgpr_read_b32 v22, acc108                     // 
v_accvgpr_read_b32 v26, acc140                     // 
v_accvgpr_read_b32 v30, acc172                     // 
v_accvgpr_read_b32 v34, acc204                     // 
v_accvgpr_read_b32 v38, acc236                     // 
v_accvgpr_read_b32 v11, acc13                      // 
v_accvgpr_read_b32 v15, acc45                      // 
v_accvgpr_read_b32 v19, acc77                      // 
v_accvgpr_read_b32 v23, acc109                     // 
v_accvgpr_read_b32 v27, acc141                     // 
v_accvgpr_read_b32 v31, acc173                     // 
v_accvgpr_read_b32 v35, acc205                     // 
v_accvgpr_read_b32 v39, acc237                     // 
s_nop 1                                            // v_accvgpr read vgpr after write vgpr: 2 wait states
ds_bpermute_b32 v8, v6, v8, offset:128             // permute edge values
ds_bpermute_b32 v12, v6, v12, offset:128           // permute edge values
ds_bpermute_b32 v16, v6, v16, offset:128           // permute edge values
	;; [unrolled: 1-line block ×7, first 2 shown]
ds_bpermute_b32 v9, v6, v9, offset:128             // permute edge values
ds_bpermute_b32 v13, v6, v13, offset:128           // permute edge values
ds_bpermute_b32 v17, v6, v17, offset:128           // permute edge values
	;; [unrolled: 1-line block ×7, first 2 shown]
s_waitcnt lgkmcnt(0)                               // wait for swizzle operation
s_mov_b32 s54, 1                                   // which thread need to shfit in this block
_v_cmpx_eq_u32 s[54:55], v7, s54                   // is thread in edge glvw region
s_nop 3                                            // wait for exec mask
v_accvgpr_write_b32 acc8, v8                       // 
v_accvgpr_write_b32 acc40, v12                     // 
v_accvgpr_write_b32 acc72, v16                     // 
v_accvgpr_write_b32 acc104, v20                    // 
v_accvgpr_write_b32 acc136, v24                    // 
v_accvgpr_write_b32 acc168, v28                    // 
v_accvgpr_write_b32 acc200, v32                    // 
v_accvgpr_write_b32 acc232, v36                    // 
v_accvgpr_write_b32 acc9, v9                       // 
v_accvgpr_write_b32 acc41, v13                     // 
v_accvgpr_write_b32 acc73, v17                     // 
v_accvgpr_write_b32 acc105, v21                    // 
v_accvgpr_write_b32 acc137, v25                    // 
v_accvgpr_write_b32 acc169, v29                    // 
v_accvgpr_write_b32 acc201, v33                    // 
v_accvgpr_write_b32 acc233, v37                    // 
v_accvgpr_write_b32 acc10, v10                     // 
v_accvgpr_write_b32 acc42, v14                     // 
v_accvgpr_write_b32 acc74, v18                     // 
v_accvgpr_write_b32 acc106, v22                    // 
v_accvgpr_write_b32 acc138, v26                    // 
v_accvgpr_write_b32 acc170, v30                    // 
v_accvgpr_write_b32 acc202, v34                    // 
v_accvgpr_write_b32 acc234, v38                    // 
v_accvgpr_write_b32 acc11, v11                     // 
v_accvgpr_write_b32 acc43, v15                     // 
v_accvgpr_write_b32 acc75, v19                     // 
v_accvgpr_write_b32 acc107, v23                    // 
v_accvgpr_write_b32 acc139, v27                    // 
v_accvgpr_write_b32 acc171, v31                    // 
v_accvgpr_write_b32 acc203, v35                    // 
v_accvgpr_write_b32 acc235, v39                    // 
s_mov_b64 s[54:55], 0xFFFFFFFFFFFFFFFF             // to restore all threads active
s_or_saveexec_b64 vcc, s[54:55]                    // all threads active
s_nop 3                                            // wait for exec mask
v_accvgpr_read_b32 v8, acc14                       // 
v_accvgpr_read_b32 v12, acc46                      // 
v_accvgpr_read_b32 v16, acc78                      // 
v_accvgpr_read_b32 v20, acc110                     // 
v_accvgpr_read_b32 v24, acc142                     // 
v_accvgpr_read_b32 v28, acc174                     // 
v_accvgpr_read_b32 v32, acc206                     // 
v_accvgpr_read_b32 v36, acc238                     // 
v_accvgpr_read_b32 v9, acc15                       // 
v_accvgpr_read_b32 v13, acc47                      // 
v_accvgpr_read_b32 v17, acc79                      // 
v_accvgpr_read_b32 v21, acc111                     // 
v_accvgpr_read_b32 v25, acc143                     // 
v_accvgpr_read_b32 v29, acc175                     // 
v_accvgpr_read_b32 v33, acc207                     // 
v_accvgpr_read_b32 v37, acc239                     // 
s_nop 1                                            // v_accvgpr read vgpr after write vgpr: 2 wait states
ds_bpermute_b32 v8, v6, v8, offset:128             // permute edge values
ds_bpermute_b32 v12, v6, v12, offset:128           // permute edge values
ds_bpermute_b32 v16, v6, v16, offset:128           // permute edge values
	;; [unrolled: 1-line block ×7, first 2 shown]
ds_bpermute_b32 v9, v6, v9, offset:128             // permute edge values
ds_bpermute_b32 v13, v6, v13, offset:128           // permute edge values
ds_bpermute_b32 v17, v6, v17, offset:128           // permute edge values
ds_bpermute_b32 v21, v6, v21, offset:128           // permute edge values
ds_bpermute_b32 v25, v6, v25, offset:128           // permute edge values
ds_bpermute_b32 v29, v6, v29, offset:128           // permute edge values
ds_bpermute_b32 v33, v6, v33, offset:128           // permute edge values
ds_bpermute_b32 v37, v6, v37, offset:128           // permute edge values
s_waitcnt lgkmcnt(0)                               // wait for swizzle operation
s_mov_b32 s54, 0                                   // which thread need to shfit in this block
_v_cmpx_eq_u32 s[54:55], v7, s54                   // is thread in edge glvw region
s_nop 3                                            // wait for exec mask
v_accvgpr_write_b32 acc12, v8                      // 
v_accvgpr_write_b32 acc44, v12                     // 
v_accvgpr_write_b32 acc76, v16                     // 
v_accvgpr_write_b32 acc108, v20                    // 
v_accvgpr_write_b32 acc140, v24                    // 
v_accvgpr_write_b32 acc172, v28                    // 
v_accvgpr_write_b32 acc204, v32                    // 
v_accvgpr_write_b32 acc236, v36                    // 
v_accvgpr_write_b32 acc13, v9                      // 
v_accvgpr_write_b32 acc45, v13                     // 
v_accvgpr_write_b32 acc77, v17                     // 
v_accvgpr_write_b32 acc109, v21                    // 
v_accvgpr_write_b32 acc141, v25                    // 
v_accvgpr_write_b32 acc173, v29                    // 
v_accvgpr_write_b32 acc205, v33                    // 
v_accvgpr_write_b32 acc237, v37                    // 
s_mov_b64 s[54:55], 0xFFFFFFFFFFFFFFFF             // to restore all threads active
s_or_saveexec_b64 vcc, s[54:55]                    // all threads active
s_nop 3                                            // wait for exec mask
s_branch label_0106                                // done

/******************************************/
/* shift d0 shift=10 glvwblk=0            */
/******************************************/
label_0079:
v_and_b32 v6, 63, v[vgprSerial]                    // permute register between threads
v_lshlrev_b32 v6, 0x2, v6                          // permute register between threads
v_lshrrev_b32 v0, 5, v[vgprSerial]                 // v0 = v[vgprSerial] / 32
v_and_b32 v7, 1, v0                                // v7 = v0 % 2
v_accvgpr_read_b32 v8, acc18                       // 
v_accvgpr_read_b32 v12, acc50                      // 
v_accvgpr_read_b32 v16, acc82                      // 
v_accvgpr_read_b32 v20, acc114                     // 
v_accvgpr_read_b32 v24, acc146                     // 
v_accvgpr_read_b32 v28, acc178                     // 
v_accvgpr_read_b32 v32, acc210                     // 
v_accvgpr_read_b32 v36, acc242                     // 
v_accvgpr_read_b32 v9, acc19                       // 
v_accvgpr_read_b32 v13, acc51                      // 
v_accvgpr_read_b32 v17, acc83                      // 
v_accvgpr_read_b32 v21, acc115                     // 
v_accvgpr_read_b32 v25, acc147                     // 
v_accvgpr_read_b32 v29, acc179                     // 
v_accvgpr_read_b32 v33, acc211                     // 
v_accvgpr_read_b32 v37, acc243                     // 
v_accvgpr_read_b32 v10, acc20                      // 
v_accvgpr_read_b32 v14, acc52                      // 
v_accvgpr_read_b32 v18, acc84                      // 
v_accvgpr_read_b32 v22, acc116                     // 
v_accvgpr_read_b32 v26, acc148                     // 
v_accvgpr_read_b32 v30, acc180                     // 
v_accvgpr_read_b32 v34, acc212                     // 
v_accvgpr_read_b32 v38, acc244                     // 
v_accvgpr_read_b32 v11, acc21                      // 
v_accvgpr_read_b32 v15, acc53                      // 
v_accvgpr_read_b32 v19, acc85                      // 
v_accvgpr_read_b32 v23, acc117                     // 
v_accvgpr_read_b32 v27, acc149                     // 
v_accvgpr_read_b32 v31, acc181                     // 
v_accvgpr_read_b32 v35, acc213                     // 
v_accvgpr_read_b32 v39, acc245                     // 
s_nop 1                                            // v_accvgpr read vgpr after write vgpr: 2 wait states
ds_bpermute_b32 v8, v6, v8, offset:128             // permute edge values
ds_bpermute_b32 v12, v6, v12, offset:128           // permute edge values
ds_bpermute_b32 v16, v6, v16, offset:128           // permute edge values
	;; [unrolled: 1-line block ×7, first 2 shown]
ds_bpermute_b32 v9, v6, v9, offset:128             // permute edge values
ds_bpermute_b32 v13, v6, v13, offset:128           // permute edge values
ds_bpermute_b32 v17, v6, v17, offset:128           // permute edge values
	;; [unrolled: 1-line block ×7, first 2 shown]
s_waitcnt lgkmcnt(0)                               // wait for swizzle operation
s_mov_b32 s54, 0                                   // which thread need to shfit in this block
_v_cmpx_eq_u32 s[54:55], v7, s54                   // is thread in edge glvw region
s_nop 3                                            // wait for exec mask
v_accvgpr_write_b32 acc16, v8                      // 
v_accvgpr_write_b32 acc48, v12                     // 
v_accvgpr_write_b32 acc80, v16                     // 
v_accvgpr_write_b32 acc112, v20                    // 
v_accvgpr_write_b32 acc144, v24                    // 
v_accvgpr_write_b32 acc176, v28                    // 
v_accvgpr_write_b32 acc208, v32                    // 
v_accvgpr_write_b32 acc240, v36                    // 
v_accvgpr_write_b32 acc17, v9                      // 
v_accvgpr_write_b32 acc49, v13                     // 
v_accvgpr_write_b32 acc81, v17                     // 
v_accvgpr_write_b32 acc113, v21                    // 
v_accvgpr_write_b32 acc145, v25                    // 
v_accvgpr_write_b32 acc177, v29                    // 
v_accvgpr_write_b32 acc209, v33                    // 
v_accvgpr_write_b32 acc241, v37                    // 
v_accvgpr_write_b32 acc18, v10                     // 
v_accvgpr_write_b32 acc50, v14                     // 
v_accvgpr_write_b32 acc82, v18                     // 
v_accvgpr_write_b32 acc114, v22                    // 
v_accvgpr_write_b32 acc146, v26                    // 
v_accvgpr_write_b32 acc178, v30                    // 
v_accvgpr_write_b32 acc210, v34                    // 
v_accvgpr_write_b32 acc242, v38                    // 
v_accvgpr_write_b32 acc19, v11                     // 
v_accvgpr_write_b32 acc51, v15                     // 
v_accvgpr_write_b32 acc83, v19                     // 
v_accvgpr_write_b32 acc115, v23                    // 
v_accvgpr_write_b32 acc147, v27                    // 
v_accvgpr_write_b32 acc179, v31                    // 
v_accvgpr_write_b32 acc211, v35                    // 
v_accvgpr_write_b32 acc243, v39                    // 
s_mov_b64 s[54:55], 0xFFFFFFFFFFFFFFFF             // to restore all threads active
s_or_saveexec_b64 vcc, s[54:55]                    // all threads active
s_nop 3                                            // wait for exec mask
v_accvgpr_read_b32 v8, acc22                       // 
v_accvgpr_read_b32 v12, acc54                      // 
v_accvgpr_read_b32 v16, acc86                      // 
v_accvgpr_read_b32 v20, acc118                     // 
v_accvgpr_read_b32 v24, acc150                     // 
v_accvgpr_read_b32 v28, acc182                     // 
v_accvgpr_read_b32 v32, acc214                     // 
v_accvgpr_read_b32 v36, acc246                     // 
v_accvgpr_read_b32 v9, acc23                       // 
v_accvgpr_read_b32 v13, acc55                      // 
v_accvgpr_read_b32 v17, acc87                      // 
v_accvgpr_read_b32 v21, acc119                     // 
v_accvgpr_read_b32 v25, acc151                     // 
v_accvgpr_read_b32 v29, acc183                     // 
v_accvgpr_read_b32 v33, acc215                     // 
v_accvgpr_read_b32 v37, acc247                     // 
v_accvgpr_read_b32 v10, acc20                      // 
v_accvgpr_read_b32 v14, acc52                      // 
v_accvgpr_read_b32 v18, acc84                      // 
v_accvgpr_read_b32 v22, acc116                     // 
v_accvgpr_read_b32 v26, acc148                     // 
v_accvgpr_read_b32 v30, acc180                     // 
v_accvgpr_read_b32 v34, acc212                     // 
v_accvgpr_read_b32 v38, acc244                     // 
v_accvgpr_read_b32 v11, acc21                      // 
v_accvgpr_read_b32 v15, acc53                      // 
v_accvgpr_read_b32 v19, acc85                      // 
v_accvgpr_read_b32 v23, acc117                     // 
v_accvgpr_read_b32 v27, acc149                     // 
v_accvgpr_read_b32 v31, acc181                     // 
v_accvgpr_read_b32 v35, acc213                     // 
v_accvgpr_read_b32 v39, acc245                     // 
s_nop 1                                            // v_accvgpr read vgpr after write vgpr: 2 wait states
ds_bpermute_b32 v8, v6, v8, offset:128             // permute edge values
ds_bpermute_b32 v12, v6, v12, offset:128           // permute edge values
ds_bpermute_b32 v16, v6, v16, offset:128           // permute edge values
	;; [unrolled: 1-line block ×7, first 2 shown]
ds_bpermute_b32 v9, v6, v9, offset:128             // permute edge values
ds_bpermute_b32 v13, v6, v13, offset:128           // permute edge values
ds_bpermute_b32 v17, v6, v17, offset:128           // permute edge values
	;; [unrolled: 1-line block ×7, first 2 shown]
s_waitcnt lgkmcnt(0)                               // wait for swizzle operation
s_mov_b32 s54, 1                                   // which thread need to shfit in this block
_v_cmpx_eq_u32 s[54:55], v7, s54                   // is thread in edge glvw region
s_nop 3                                            // wait for exec mask
v_accvgpr_write_b32 acc16, v8                      // 
v_accvgpr_write_b32 acc48, v12                     // 
v_accvgpr_write_b32 acc80, v16                     // 
v_accvgpr_write_b32 acc112, v20                    // 
v_accvgpr_write_b32 acc144, v24                    // 
v_accvgpr_write_b32 acc176, v28                    // 
v_accvgpr_write_b32 acc208, v32                    // 
v_accvgpr_write_b32 acc240, v36                    // 
v_accvgpr_write_b32 acc17, v9                      // 
v_accvgpr_write_b32 acc49, v13                     // 
v_accvgpr_write_b32 acc81, v17                     // 
v_accvgpr_write_b32 acc113, v21                    // 
v_accvgpr_write_b32 acc145, v25                    // 
v_accvgpr_write_b32 acc177, v29                    // 
v_accvgpr_write_b32 acc209, v33                    // 
v_accvgpr_write_b32 acc241, v37                    // 
v_accvgpr_write_b32 acc18, v10                     // 
v_accvgpr_write_b32 acc50, v14                     // 
v_accvgpr_write_b32 acc82, v18                     // 
v_accvgpr_write_b32 acc114, v22                    // 
v_accvgpr_write_b32 acc146, v26                    // 
v_accvgpr_write_b32 acc178, v30                    // 
v_accvgpr_write_b32 acc210, v34                    // 
v_accvgpr_write_b32 acc242, v38                    // 
v_accvgpr_write_b32 acc19, v11                     // 
v_accvgpr_write_b32 acc51, v15                     // 
v_accvgpr_write_b32 acc83, v19                     // 
v_accvgpr_write_b32 acc115, v23                    // 
v_accvgpr_write_b32 acc147, v27                    // 
v_accvgpr_write_b32 acc179, v31                    // 
v_accvgpr_write_b32 acc211, v35                    // 
v_accvgpr_write_b32 acc243, v39                    // 
s_mov_b64 s[54:55], 0xFFFFFFFFFFFFFFFF             // to restore all threads active
s_or_saveexec_b64 vcc, s[54:55]                    // all threads active
s_nop 3                                            // wait for exec mask
v_accvgpr_read_b32 v8, acc22                       // 
v_accvgpr_read_b32 v12, acc54                      // 
v_accvgpr_read_b32 v16, acc86                      // 
v_accvgpr_read_b32 v20, acc118                     // 
v_accvgpr_read_b32 v24, acc150                     // 
v_accvgpr_read_b32 v28, acc182                     // 
v_accvgpr_read_b32 v32, acc214                     // 
v_accvgpr_read_b32 v36, acc246                     // 
v_accvgpr_read_b32 v9, acc23                       // 
v_accvgpr_read_b32 v13, acc55                      // 
v_accvgpr_read_b32 v17, acc87                      // 
v_accvgpr_read_b32 v21, acc119                     // 
v_accvgpr_read_b32 v25, acc151                     // 
v_accvgpr_read_b32 v29, acc183                     // 
v_accvgpr_read_b32 v33, acc215                     // 
v_accvgpr_read_b32 v37, acc247                     // 
s_nop 1                                            // v_accvgpr read vgpr after write vgpr: 2 wait states
ds_bpermute_b32 v8, v6, v8, offset:128             // permute edge values
ds_bpermute_b32 v12, v6, v12, offset:128           // permute edge values
ds_bpermute_b32 v16, v6, v16, offset:128           // permute edge values
	;; [unrolled: 1-line block ×7, first 2 shown]
ds_bpermute_b32 v9, v6, v9, offset:128             // permute edge values
ds_bpermute_b32 v13, v6, v13, offset:128           // permute edge values
ds_bpermute_b32 v17, v6, v17, offset:128           // permute edge values
	;; [unrolled: 1-line block ×7, first 2 shown]
s_waitcnt lgkmcnt(0)                               // wait for swizzle operation
s_mov_b32 s54, 0                                   // which thread need to shfit in this block
_v_cmpx_eq_u32 s[54:55], v7, s54                   // is thread in edge glvw region
s_nop 3                                            // wait for exec mask
v_accvgpr_write_b32 acc20, v8                      // 
v_accvgpr_write_b32 acc52, v12                     // 
v_accvgpr_write_b32 acc84, v16                     // 
v_accvgpr_write_b32 acc116, v20                    // 
v_accvgpr_write_b32 acc148, v24                    // 
v_accvgpr_write_b32 acc180, v28                    // 
v_accvgpr_write_b32 acc212, v32                    // 
v_accvgpr_write_b32 acc244, v36                    // 
v_accvgpr_write_b32 acc21, v9                      // 
v_accvgpr_write_b32 acc53, v13                     // 
v_accvgpr_write_b32 acc85, v17                     // 
v_accvgpr_write_b32 acc117, v21                    // 
v_accvgpr_write_b32 acc149, v25                    // 
v_accvgpr_write_b32 acc181, v29                    // 
v_accvgpr_write_b32 acc213, v33                    // 
v_accvgpr_write_b32 acc245, v37                    // 
s_mov_b64 s[54:55], 0xFFFFFFFFFFFFFFFF             // to restore all threads active
s_or_saveexec_b64 vcc, s[54:55]                    // all threads active
s_nop 3                                            // wait for exec mask
s_branch label_0106                                // done

/******************************************/
/* shift d0 shift=10 glvwblk=1            */
/******************************************/
label_0080:
v_and_b32 v6, 63, v[vgprSerial]                    // permute register between threads
v_lshlrev_b32 v6, 0x2, v6                          // permute register between threads
v_lshrrev_b32 v0, 5, v[vgprSerial]                 // v0 = v[vgprSerial] / 32
v_and_b32 v7, 1, v0                                // v7 = v0 % 2
v_accvgpr_read_b32 v8, acc26                       // 
v_accvgpr_read_b32 v12, acc58                      // 
v_accvgpr_read_b32 v16, acc90                      // 
v_accvgpr_read_b32 v20, acc122                     // 
v_accvgpr_read_b32 v24, acc154                     // 
v_accvgpr_read_b32 v28, acc186                     // 
v_accvgpr_read_b32 v32, acc218                     // 
v_accvgpr_read_b32 v36, acc250                     // 
v_accvgpr_read_b32 v9, acc27                       // 
v_accvgpr_read_b32 v13, acc59                      // 
v_accvgpr_read_b32 v17, acc91                      // 
v_accvgpr_read_b32 v21, acc123                     // 
v_accvgpr_read_b32 v25, acc155                     // 
v_accvgpr_read_b32 v29, acc187                     // 
v_accvgpr_read_b32 v33, acc219                     // 
v_accvgpr_read_b32 v37, acc251                     // 
v_accvgpr_read_b32 v10, acc28                      // 
v_accvgpr_read_b32 v14, acc60                      // 
v_accvgpr_read_b32 v18, acc92                      // 
v_accvgpr_read_b32 v22, acc124                     // 
v_accvgpr_read_b32 v26, acc156                     // 
v_accvgpr_read_b32 v30, acc188                     // 
v_accvgpr_read_b32 v34, acc220                     // 
v_accvgpr_read_b32 v38, acc252                     // 
v_accvgpr_read_b32 v11, acc29                      // 
v_accvgpr_read_b32 v15, acc61                      // 
v_accvgpr_read_b32 v19, acc93                      // 
v_accvgpr_read_b32 v23, acc125                     // 
v_accvgpr_read_b32 v27, acc157                     // 
v_accvgpr_read_b32 v31, acc189                     // 
v_accvgpr_read_b32 v35, acc221                     // 
v_accvgpr_read_b32 v39, acc253                     // 
s_nop 1                                            // v_accvgpr read vgpr after write vgpr: 2 wait states
ds_bpermute_b32 v8, v6, v8, offset:128             // permute edge values
ds_bpermute_b32 v12, v6, v12, offset:128           // permute edge values
ds_bpermute_b32 v16, v6, v16, offset:128           // permute edge values
	;; [unrolled: 1-line block ×7, first 2 shown]
ds_bpermute_b32 v9, v6, v9, offset:128             // permute edge values
ds_bpermute_b32 v13, v6, v13, offset:128           // permute edge values
ds_bpermute_b32 v17, v6, v17, offset:128           // permute edge values
	;; [unrolled: 1-line block ×7, first 2 shown]
s_waitcnt lgkmcnt(0)                               // wait for swizzle operation
s_mov_b32 s54, 0                                   // which thread need to shfit in this block
_v_cmpx_eq_u32 s[54:55], v7, s54                   // is thread in edge glvw region
s_nop 3                                            // wait for exec mask
v_accvgpr_write_b32 acc24, v8                      // 
v_accvgpr_write_b32 acc56, v12                     // 
v_accvgpr_write_b32 acc88, v16                     // 
v_accvgpr_write_b32 acc120, v20                    // 
v_accvgpr_write_b32 acc152, v24                    // 
v_accvgpr_write_b32 acc184, v28                    // 
v_accvgpr_write_b32 acc216, v32                    // 
v_accvgpr_write_b32 acc248, v36                    // 
v_accvgpr_write_b32 acc25, v9                      // 
v_accvgpr_write_b32 acc57, v13                     // 
v_accvgpr_write_b32 acc89, v17                     // 
v_accvgpr_write_b32 acc121, v21                    // 
v_accvgpr_write_b32 acc153, v25                    // 
v_accvgpr_write_b32 acc185, v29                    // 
v_accvgpr_write_b32 acc217, v33                    // 
v_accvgpr_write_b32 acc249, v37                    // 
v_accvgpr_write_b32 acc26, v10                     // 
v_accvgpr_write_b32 acc58, v14                     // 
v_accvgpr_write_b32 acc90, v18                     // 
v_accvgpr_write_b32 acc122, v22                    // 
v_accvgpr_write_b32 acc154, v26                    // 
v_accvgpr_write_b32 acc186, v30                    // 
v_accvgpr_write_b32 acc218, v34                    // 
v_accvgpr_write_b32 acc250, v38                    // 
v_accvgpr_write_b32 acc27, v11                     // 
v_accvgpr_write_b32 acc59, v15                     // 
v_accvgpr_write_b32 acc91, v19                     // 
v_accvgpr_write_b32 acc123, v23                    // 
v_accvgpr_write_b32 acc155, v27                    // 
v_accvgpr_write_b32 acc187, v31                    // 
v_accvgpr_write_b32 acc219, v35                    // 
v_accvgpr_write_b32 acc251, v39                    // 
s_mov_b64 s[54:55], 0xFFFFFFFFFFFFFFFF             // to restore all threads active
s_or_saveexec_b64 vcc, s[54:55]                    // all threads active
s_nop 3                                            // wait for exec mask
v_accvgpr_read_b32 v8, acc30                       // 
v_accvgpr_read_b32 v12, acc62                      // 
v_accvgpr_read_b32 v16, acc94                      // 
v_accvgpr_read_b32 v20, acc126                     // 
v_accvgpr_read_b32 v24, acc158                     // 
v_accvgpr_read_b32 v28, acc190                     // 
v_accvgpr_read_b32 v32, acc222                     // 
v_accvgpr_read_b32 v36, acc254                     // 
v_accvgpr_read_b32 v9, acc31                       // 
v_accvgpr_read_b32 v13, acc63                      // 
v_accvgpr_read_b32 v17, acc95                      // 
v_accvgpr_read_b32 v21, acc127                     // 
v_accvgpr_read_b32 v25, acc159                     // 
v_accvgpr_read_b32 v29, acc191                     // 
v_accvgpr_read_b32 v33, acc223                     // 
v_accvgpr_read_b32 v37, acc255                     // 
v_accvgpr_read_b32 v10, acc28                      // 
v_accvgpr_read_b32 v14, acc60                      // 
v_accvgpr_read_b32 v18, acc92                      // 
v_accvgpr_read_b32 v22, acc124                     // 
v_accvgpr_read_b32 v26, acc156                     // 
v_accvgpr_read_b32 v30, acc188                     // 
v_accvgpr_read_b32 v34, acc220                     // 
v_accvgpr_read_b32 v38, acc252                     // 
v_accvgpr_read_b32 v11, acc29                      // 
v_accvgpr_read_b32 v15, acc61                      // 
v_accvgpr_read_b32 v19, acc93                      // 
v_accvgpr_read_b32 v23, acc125                     // 
v_accvgpr_read_b32 v27, acc157                     // 
v_accvgpr_read_b32 v31, acc189                     // 
v_accvgpr_read_b32 v35, acc221                     // 
v_accvgpr_read_b32 v39, acc253                     // 
s_nop 1                                            // v_accvgpr read vgpr after write vgpr: 2 wait states
ds_bpermute_b32 v8, v6, v8, offset:128             // permute edge values
ds_bpermute_b32 v12, v6, v12, offset:128           // permute edge values
ds_bpermute_b32 v16, v6, v16, offset:128           // permute edge values
	;; [unrolled: 1-line block ×7, first 2 shown]
ds_bpermute_b32 v9, v6, v9, offset:128             // permute edge values
ds_bpermute_b32 v13, v6, v13, offset:128           // permute edge values
ds_bpermute_b32 v17, v6, v17, offset:128           // permute edge values
	;; [unrolled: 1-line block ×7, first 2 shown]
s_waitcnt lgkmcnt(0)                               // wait for swizzle operation
s_mov_b32 s54, 1                                   // which thread need to shfit in this block
_v_cmpx_eq_u32 s[54:55], v7, s54                   // is thread in edge glvw region
s_nop 3                                            // wait for exec mask
v_accvgpr_write_b32 acc24, v8                      // 
v_accvgpr_write_b32 acc56, v12                     // 
v_accvgpr_write_b32 acc88, v16                     // 
v_accvgpr_write_b32 acc120, v20                    // 
v_accvgpr_write_b32 acc152, v24                    // 
v_accvgpr_write_b32 acc184, v28                    // 
v_accvgpr_write_b32 acc216, v32                    // 
v_accvgpr_write_b32 acc248, v36                    // 
v_accvgpr_write_b32 acc25, v9                      // 
v_accvgpr_write_b32 acc57, v13                     // 
v_accvgpr_write_b32 acc89, v17                     // 
v_accvgpr_write_b32 acc121, v21                    // 
v_accvgpr_write_b32 acc153, v25                    // 
v_accvgpr_write_b32 acc185, v29                    // 
v_accvgpr_write_b32 acc217, v33                    // 
v_accvgpr_write_b32 acc249, v37                    // 
v_accvgpr_write_b32 acc26, v10                     // 
v_accvgpr_write_b32 acc58, v14                     // 
v_accvgpr_write_b32 acc90, v18                     // 
v_accvgpr_write_b32 acc122, v22                    // 
v_accvgpr_write_b32 acc154, v26                    // 
v_accvgpr_write_b32 acc186, v30                    // 
v_accvgpr_write_b32 acc218, v34                    // 
v_accvgpr_write_b32 acc250, v38                    // 
v_accvgpr_write_b32 acc27, v11                     // 
v_accvgpr_write_b32 acc59, v15                     // 
v_accvgpr_write_b32 acc91, v19                     // 
v_accvgpr_write_b32 acc123, v23                    // 
v_accvgpr_write_b32 acc155, v27                    // 
v_accvgpr_write_b32 acc187, v31                    // 
v_accvgpr_write_b32 acc219, v35                    // 
v_accvgpr_write_b32 acc251, v39                    // 
s_mov_b64 s[54:55], 0xFFFFFFFFFFFFFFFF             // to restore all threads active
s_or_saveexec_b64 vcc, s[54:55]                    // all threads active
s_nop 3                                            // wait for exec mask
v_accvgpr_read_b32 v8, acc30                       // 
v_accvgpr_read_b32 v12, acc62                      // 
v_accvgpr_read_b32 v16, acc94                      // 
v_accvgpr_read_b32 v20, acc126                     // 
v_accvgpr_read_b32 v24, acc158                     // 
v_accvgpr_read_b32 v28, acc190                     // 
v_accvgpr_read_b32 v32, acc222                     // 
v_accvgpr_read_b32 v36, acc254                     // 
v_accvgpr_read_b32 v9, acc31                       // 
v_accvgpr_read_b32 v13, acc63                      // 
v_accvgpr_read_b32 v17, acc95                      // 
v_accvgpr_read_b32 v21, acc127                     // 
v_accvgpr_read_b32 v25, acc159                     // 
v_accvgpr_read_b32 v29, acc191                     // 
v_accvgpr_read_b32 v33, acc223                     // 
v_accvgpr_read_b32 v37, acc255                     // 
s_nop 1                                            // v_accvgpr read vgpr after write vgpr: 2 wait states
ds_bpermute_b32 v8, v6, v8, offset:128             // permute edge values
ds_bpermute_b32 v12, v6, v12, offset:128           // permute edge values
ds_bpermute_b32 v16, v6, v16, offset:128           // permute edge values
	;; [unrolled: 1-line block ×7, first 2 shown]
ds_bpermute_b32 v9, v6, v9, offset:128             // permute edge values
ds_bpermute_b32 v13, v6, v13, offset:128           // permute edge values
ds_bpermute_b32 v17, v6, v17, offset:128           // permute edge values
	;; [unrolled: 1-line block ×7, first 2 shown]
s_waitcnt lgkmcnt(0)                               // wait for swizzle operation
s_mov_b32 s54, 0                                   // which thread need to shfit in this block
_v_cmpx_eq_u32 s[54:55], v7, s54                   // is thread in edge glvw region
s_nop 3                                            // wait for exec mask
v_accvgpr_write_b32 acc28, v8                      // 
v_accvgpr_write_b32 acc60, v12                     // 
v_accvgpr_write_b32 acc92, v16                     // 
v_accvgpr_write_b32 acc124, v20                    // 
v_accvgpr_write_b32 acc156, v24                    // 
v_accvgpr_write_b32 acc188, v28                    // 
v_accvgpr_write_b32 acc220, v32                    // 
v_accvgpr_write_b32 acc252, v36                    // 
v_accvgpr_write_b32 acc29, v9                      // 
v_accvgpr_write_b32 acc61, v13                     // 
v_accvgpr_write_b32 acc93, v17                     // 
v_accvgpr_write_b32 acc125, v21                    // 
v_accvgpr_write_b32 acc157, v25                    // 
v_accvgpr_write_b32 acc189, v29                    // 
v_accvgpr_write_b32 acc221, v33                    // 
v_accvgpr_write_b32 acc253, v37                    // 
s_mov_b64 s[54:55], 0xFFFFFFFFFFFFFFFF             // to restore all threads active
s_or_saveexec_b64 vcc, s[54:55]                    // all threads active
s_nop 3                                            // wait for exec mask
s_branch label_0106                                // done

/******************************************/
/* shift d0 shift=11 glvwblk=0            */
/******************************************/
label_0082:
v_and_b32 v6, 63, v[vgprSerial]                    // permute register between threads
v_lshlrev_b32 v6, 0x2, v6                          // permute register between threads
v_lshrrev_b32 v0, 5, v[vgprSerial]                 // v0 = v[vgprSerial] / 32
v_and_b32 v7, 1, v0                                // v7 = v0 % 2
v_accvgpr_read_b32 v8, acc1                        // 
v_accvgpr_read_b32 v12, acc33                      // 
v_accvgpr_read_b32 v16, acc65                      // 
v_accvgpr_read_b32 v20, acc97                      // 
v_accvgpr_read_b32 v24, acc129                     // 
v_accvgpr_read_b32 v28, acc161                     // 
v_accvgpr_read_b32 v32, acc193                     // 
v_accvgpr_read_b32 v36, acc225                     // 
v_accvgpr_read_b32 v9, acc2                        // 
v_accvgpr_read_b32 v13, acc34                      // 
v_accvgpr_read_b32 v17, acc66                      // 
v_accvgpr_read_b32 v21, acc98                      // 
v_accvgpr_read_b32 v25, acc130                     // 
v_accvgpr_read_b32 v29, acc162                     // 
v_accvgpr_read_b32 v33, acc194                     // 
v_accvgpr_read_b32 v37, acc226                     // 
v_accvgpr_read_b32 v10, acc3                       // 
v_accvgpr_read_b32 v14, acc35                      // 
v_accvgpr_read_b32 v18, acc67                      // 
v_accvgpr_read_b32 v22, acc99                      // 
v_accvgpr_read_b32 v26, acc131                     // 
v_accvgpr_read_b32 v30, acc163                     // 
v_accvgpr_read_b32 v34, acc195                     // 
v_accvgpr_read_b32 v38, acc227                     // 
v_accvgpr_read_b32 v11, acc4                       // 
v_accvgpr_read_b32 v15, acc36                      // 
v_accvgpr_read_b32 v19, acc68                      // 
v_accvgpr_read_b32 v23, acc100                     // 
v_accvgpr_read_b32 v27, acc132                     // 
v_accvgpr_read_b32 v31, acc164                     // 
v_accvgpr_read_b32 v35, acc196                     // 
v_accvgpr_read_b32 v39, acc228                     // 
s_nop 1                                            // v_accvgpr read vgpr after write vgpr: 2 wait states
ds_bpermute_b32 v8, v6, v8, offset:128             // permute edge values
ds_bpermute_b32 v12, v6, v12, offset:128           // permute edge values
ds_bpermute_b32 v16, v6, v16, offset:128           // permute edge values
	;; [unrolled: 1-line block ×7, first 2 shown]
ds_bpermute_b32 v9, v6, v9, offset:128             // permute edge values
ds_bpermute_b32 v13, v6, v13, offset:128           // permute edge values
ds_bpermute_b32 v17, v6, v17, offset:128           // permute edge values
ds_bpermute_b32 v21, v6, v21, offset:128           // permute edge values
ds_bpermute_b32 v25, v6, v25, offset:128           // permute edge values
ds_bpermute_b32 v29, v6, v29, offset:128           // permute edge values
ds_bpermute_b32 v33, v6, v33, offset:128           // permute edge values
ds_bpermute_b32 v37, v6, v37, offset:128           // permute edge values
ds_bpermute_b32 v10, v6, v10, offset:128           // permute edge values
ds_bpermute_b32 v14, v6, v14, offset:128           // permute edge values
ds_bpermute_b32 v18, v6, v18, offset:128           // permute edge values
ds_bpermute_b32 v22, v6, v22, offset:128           // permute edge values
ds_bpermute_b32 v26, v6, v26, offset:128           // permute edge values
ds_bpermute_b32 v30, v6, v30, offset:128           // permute edge values
ds_bpermute_b32 v34, v6, v34, offset:128           // permute edge values
ds_bpermute_b32 v38, v6, v38, offset:128           // permute edge values
s_waitcnt lgkmcnt(0)                               // wait for swizzle operation
s_mov_b32 s54, 0                                   // which thread need to shfit in this block
_v_cmpx_eq_u32 s[54:55], v7, s54                   // is thread in edge glvw region
s_nop 3                                            // wait for exec mask
v_accvgpr_write_b32 acc0, v8                       // 
v_accvgpr_write_b32 acc32, v12                     // 
v_accvgpr_write_b32 acc64, v16                     // 
v_accvgpr_write_b32 acc96, v20                     // 
v_accvgpr_write_b32 acc128, v24                    // 
v_accvgpr_write_b32 acc160, v28                    // 
v_accvgpr_write_b32 acc192, v32                    // 
v_accvgpr_write_b32 acc224, v36                    // 
v_accvgpr_write_b32 acc1, v9                       // 
v_accvgpr_write_b32 acc33, v13                     // 
v_accvgpr_write_b32 acc65, v17                     // 
v_accvgpr_write_b32 acc97, v21                     // 
v_accvgpr_write_b32 acc129, v25                    // 
v_accvgpr_write_b32 acc161, v29                    // 
v_accvgpr_write_b32 acc193, v33                    // 
v_accvgpr_write_b32 acc225, v37                    // 
v_accvgpr_write_b32 acc2, v10                      // 
v_accvgpr_write_b32 acc34, v14                     // 
v_accvgpr_write_b32 acc66, v18                     // 
v_accvgpr_write_b32 acc98, v22                     // 
v_accvgpr_write_b32 acc130, v26                    // 
v_accvgpr_write_b32 acc162, v30                    // 
v_accvgpr_write_b32 acc194, v34                    // 
v_accvgpr_write_b32 acc226, v38                    // 
v_accvgpr_write_b32 acc3, v11                      // 
v_accvgpr_write_b32 acc35, v15                     // 
v_accvgpr_write_b32 acc67, v19                     // 
v_accvgpr_write_b32 acc99, v23                     // 
v_accvgpr_write_b32 acc131, v27                    // 
v_accvgpr_write_b32 acc163, v31                    // 
v_accvgpr_write_b32 acc195, v35                    // 
v_accvgpr_write_b32 acc227, v39                    // 
s_mov_b64 s[54:55], 0xFFFFFFFFFFFFFFFF             // to restore all threads active
s_or_saveexec_b64 vcc, s[54:55]                    // all threads active
s_nop 3                                            // wait for exec mask
v_accvgpr_read_b32 v8, acc5                        // 
v_accvgpr_read_b32 v12, acc37                      // 
v_accvgpr_read_b32 v16, acc69                      // 
v_accvgpr_read_b32 v20, acc101                     // 
v_accvgpr_read_b32 v24, acc133                     // 
v_accvgpr_read_b32 v28, acc165                     // 
v_accvgpr_read_b32 v32, acc197                     // 
v_accvgpr_read_b32 v36, acc229                     // 
v_accvgpr_read_b32 v9, acc6                        // 
v_accvgpr_read_b32 v13, acc38                      // 
v_accvgpr_read_b32 v17, acc70                      // 
v_accvgpr_read_b32 v21, acc102                     // 
v_accvgpr_read_b32 v25, acc134                     // 
v_accvgpr_read_b32 v29, acc166                     // 
v_accvgpr_read_b32 v33, acc198                     // 
v_accvgpr_read_b32 v37, acc230                     // 
v_accvgpr_read_b32 v10, acc7                       // 
v_accvgpr_read_b32 v14, acc39                      // 
v_accvgpr_read_b32 v18, acc71                      // 
v_accvgpr_read_b32 v22, acc103                     // 
v_accvgpr_read_b32 v26, acc135                     // 
v_accvgpr_read_b32 v30, acc167                     // 
v_accvgpr_read_b32 v34, acc199                     // 
v_accvgpr_read_b32 v38, acc231                     // 
v_accvgpr_read_b32 v11, acc4                       // 
v_accvgpr_read_b32 v15, acc36                      // 
v_accvgpr_read_b32 v19, acc68                      // 
v_accvgpr_read_b32 v23, acc100                     // 
v_accvgpr_read_b32 v27, acc132                     // 
v_accvgpr_read_b32 v31, acc164                     // 
v_accvgpr_read_b32 v35, acc196                     // 
v_accvgpr_read_b32 v39, acc228                     // 
s_nop 1                                            // v_accvgpr read vgpr after write vgpr: 2 wait states
ds_bpermute_b32 v8, v6, v8, offset:128             // permute edge values
ds_bpermute_b32 v12, v6, v12, offset:128           // permute edge values
ds_bpermute_b32 v16, v6, v16, offset:128           // permute edge values
	;; [unrolled: 1-line block ×7, first 2 shown]
ds_bpermute_b32 v9, v6, v9, offset:128             // permute edge values
ds_bpermute_b32 v13, v6, v13, offset:128           // permute edge values
ds_bpermute_b32 v17, v6, v17, offset:128           // permute edge values
	;; [unrolled: 1-line block ×15, first 2 shown]
s_waitcnt lgkmcnt(0)                               // wait for swizzle operation
s_mov_b32 s54, 1                                   // which thread need to shfit in this block
_v_cmpx_eq_u32 s[54:55], v7, s54                   // is thread in edge glvw region
s_nop 3                                            // wait for exec mask
v_accvgpr_write_b32 acc0, v8                       // 
v_accvgpr_write_b32 acc32, v12                     // 
v_accvgpr_write_b32 acc64, v16                     // 
v_accvgpr_write_b32 acc96, v20                     // 
v_accvgpr_write_b32 acc128, v24                    // 
v_accvgpr_write_b32 acc160, v28                    // 
v_accvgpr_write_b32 acc192, v32                    // 
v_accvgpr_write_b32 acc224, v36                    // 
v_accvgpr_write_b32 acc1, v9                       // 
v_accvgpr_write_b32 acc33, v13                     // 
v_accvgpr_write_b32 acc65, v17                     // 
v_accvgpr_write_b32 acc97, v21                     // 
v_accvgpr_write_b32 acc129, v25                    // 
v_accvgpr_write_b32 acc161, v29                    // 
v_accvgpr_write_b32 acc193, v33                    // 
v_accvgpr_write_b32 acc225, v37                    // 
v_accvgpr_write_b32 acc2, v10                      // 
v_accvgpr_write_b32 acc34, v14                     // 
v_accvgpr_write_b32 acc66, v18                     // 
v_accvgpr_write_b32 acc98, v22                     // 
v_accvgpr_write_b32 acc130, v26                    // 
v_accvgpr_write_b32 acc162, v30                    // 
v_accvgpr_write_b32 acc194, v34                    // 
v_accvgpr_write_b32 acc226, v38                    // 
v_accvgpr_write_b32 acc3, v11                      // 
v_accvgpr_write_b32 acc35, v15                     // 
v_accvgpr_write_b32 acc67, v19                     // 
v_accvgpr_write_b32 acc99, v23                     // 
v_accvgpr_write_b32 acc131, v27                    // 
v_accvgpr_write_b32 acc163, v31                    // 
v_accvgpr_write_b32 acc195, v35                    // 
v_accvgpr_write_b32 acc227, v39                    // 
s_mov_b64 s[54:55], 0xFFFFFFFFFFFFFFFF             // to restore all threads active
s_or_saveexec_b64 vcc, s[54:55]                    // all threads active
s_nop 3                                            // wait for exec mask
v_accvgpr_read_b32 v8, acc5                        // 
v_accvgpr_read_b32 v12, acc37                      // 
v_accvgpr_read_b32 v16, acc69                      // 
v_accvgpr_read_b32 v20, acc101                     // 
v_accvgpr_read_b32 v24, acc133                     // 
v_accvgpr_read_b32 v28, acc165                     // 
v_accvgpr_read_b32 v32, acc197                     // 
v_accvgpr_read_b32 v36, acc229                     // 
v_accvgpr_read_b32 v9, acc6                        // 
v_accvgpr_read_b32 v13, acc38                      // 
v_accvgpr_read_b32 v17, acc70                      // 
v_accvgpr_read_b32 v21, acc102                     // 
v_accvgpr_read_b32 v25, acc134                     // 
v_accvgpr_read_b32 v29, acc166                     // 
v_accvgpr_read_b32 v33, acc198                     // 
v_accvgpr_read_b32 v37, acc230                     // 
v_accvgpr_read_b32 v10, acc7                       // 
v_accvgpr_read_b32 v14, acc39                      // 
v_accvgpr_read_b32 v18, acc71                      // 
v_accvgpr_read_b32 v22, acc103                     // 
v_accvgpr_read_b32 v26, acc135                     // 
v_accvgpr_read_b32 v30, acc167                     // 
v_accvgpr_read_b32 v34, acc199                     // 
v_accvgpr_read_b32 v38, acc231                     // 
s_nop 1                                            // v_accvgpr read vgpr after write vgpr: 2 wait states
ds_bpermute_b32 v8, v6, v8, offset:128             // permute edge values
ds_bpermute_b32 v12, v6, v12, offset:128           // permute edge values
ds_bpermute_b32 v16, v6, v16, offset:128           // permute edge values
	;; [unrolled: 1-line block ×7, first 2 shown]
ds_bpermute_b32 v9, v6, v9, offset:128             // permute edge values
ds_bpermute_b32 v13, v6, v13, offset:128           // permute edge values
ds_bpermute_b32 v17, v6, v17, offset:128           // permute edge values
	;; [unrolled: 1-line block ×15, first 2 shown]
s_waitcnt lgkmcnt(0)                               // wait for swizzle operation
s_mov_b32 s54, 0                                   // which thread need to shfit in this block
_v_cmpx_eq_u32 s[54:55], v7, s54                   // is thread in edge glvw region
s_nop 3                                            // wait for exec mask
v_accvgpr_write_b32 acc4, v8                       // 
v_accvgpr_write_b32 acc36, v12                     // 
v_accvgpr_write_b32 acc68, v16                     // 
v_accvgpr_write_b32 acc100, v20                    // 
v_accvgpr_write_b32 acc132, v24                    // 
v_accvgpr_write_b32 acc164, v28                    // 
v_accvgpr_write_b32 acc196, v32                    // 
v_accvgpr_write_b32 acc228, v36                    // 
v_accvgpr_write_b32 acc5, v9                       // 
v_accvgpr_write_b32 acc37, v13                     // 
v_accvgpr_write_b32 acc69, v17                     // 
v_accvgpr_write_b32 acc101, v21                    // 
v_accvgpr_write_b32 acc133, v25                    // 
v_accvgpr_write_b32 acc165, v29                    // 
v_accvgpr_write_b32 acc197, v33                    // 
v_accvgpr_write_b32 acc229, v37                    // 
v_accvgpr_write_b32 acc6, v10                      // 
v_accvgpr_write_b32 acc38, v14                     // 
v_accvgpr_write_b32 acc70, v18                     // 
v_accvgpr_write_b32 acc102, v22                    // 
v_accvgpr_write_b32 acc134, v26                    // 
v_accvgpr_write_b32 acc166, v30                    // 
v_accvgpr_write_b32 acc198, v34                    // 
v_accvgpr_write_b32 acc230, v38                    // 
s_mov_b64 s[54:55], 0xFFFFFFFFFFFFFFFF             // to restore all threads active
s_or_saveexec_b64 vcc, s[54:55]                    // all threads active
s_nop 3                                            // wait for exec mask
s_branch label_0106                                // done

/******************************************/
/* shift d0 shift=11 glvwblk=1            */
/******************************************/
label_0083:
v_and_b32 v6, 63, v[vgprSerial]                    // permute register between threads
v_lshlrev_b32 v6, 0x2, v6                          // permute register between threads
v_lshrrev_b32 v0, 5, v[vgprSerial]                 // v0 = v[vgprSerial] / 32
v_and_b32 v7, 1, v0                                // v7 = v0 % 2
v_accvgpr_read_b32 v8, acc9                        // 
v_accvgpr_read_b32 v12, acc41                      // 
v_accvgpr_read_b32 v16, acc73                      // 
v_accvgpr_read_b32 v20, acc105                     // 
v_accvgpr_read_b32 v24, acc137                     // 
v_accvgpr_read_b32 v28, acc169                     // 
v_accvgpr_read_b32 v32, acc201                     // 
v_accvgpr_read_b32 v36, acc233                     // 
v_accvgpr_read_b32 v9, acc10                       // 
v_accvgpr_read_b32 v13, acc42                      // 
v_accvgpr_read_b32 v17, acc74                      // 
v_accvgpr_read_b32 v21, acc106                     // 
v_accvgpr_read_b32 v25, acc138                     // 
v_accvgpr_read_b32 v29, acc170                     // 
v_accvgpr_read_b32 v33, acc202                     // 
v_accvgpr_read_b32 v37, acc234                     // 
v_accvgpr_read_b32 v10, acc11                      // 
v_accvgpr_read_b32 v14, acc43                      // 
v_accvgpr_read_b32 v18, acc75                      // 
v_accvgpr_read_b32 v22, acc107                     // 
v_accvgpr_read_b32 v26, acc139                     // 
v_accvgpr_read_b32 v30, acc171                     // 
v_accvgpr_read_b32 v34, acc203                     // 
v_accvgpr_read_b32 v38, acc235                     // 
v_accvgpr_read_b32 v11, acc12                      // 
v_accvgpr_read_b32 v15, acc44                      // 
v_accvgpr_read_b32 v19, acc76                      // 
v_accvgpr_read_b32 v23, acc108                     // 
v_accvgpr_read_b32 v27, acc140                     // 
v_accvgpr_read_b32 v31, acc172                     // 
v_accvgpr_read_b32 v35, acc204                     // 
v_accvgpr_read_b32 v39, acc236                     // 
s_nop 1                                            // v_accvgpr read vgpr after write vgpr: 2 wait states
ds_bpermute_b32 v8, v6, v8, offset:128             // permute edge values
ds_bpermute_b32 v12, v6, v12, offset:128           // permute edge values
ds_bpermute_b32 v16, v6, v16, offset:128           // permute edge values
ds_bpermute_b32 v20, v6, v20, offset:128           // permute edge values
ds_bpermute_b32 v24, v6, v24, offset:128           // permute edge values
ds_bpermute_b32 v28, v6, v28, offset:128           // permute edge values
ds_bpermute_b32 v32, v6, v32, offset:128           // permute edge values
ds_bpermute_b32 v36, v6, v36, offset:128           // permute edge values
ds_bpermute_b32 v9, v6, v9, offset:128             // permute edge values
ds_bpermute_b32 v13, v6, v13, offset:128           // permute edge values
ds_bpermute_b32 v17, v6, v17, offset:128           // permute edge values
	;; [unrolled: 1-line block ×15, first 2 shown]
s_waitcnt lgkmcnt(0)                               // wait for swizzle operation
s_mov_b32 s54, 0                                   // which thread need to shfit in this block
_v_cmpx_eq_u32 s[54:55], v7, s54                   // is thread in edge glvw region
s_nop 3                                            // wait for exec mask
v_accvgpr_write_b32 acc8, v8                       // 
v_accvgpr_write_b32 acc40, v12                     // 
v_accvgpr_write_b32 acc72, v16                     // 
v_accvgpr_write_b32 acc104, v20                    // 
v_accvgpr_write_b32 acc136, v24                    // 
v_accvgpr_write_b32 acc168, v28                    // 
v_accvgpr_write_b32 acc200, v32                    // 
v_accvgpr_write_b32 acc232, v36                    // 
v_accvgpr_write_b32 acc9, v9                       // 
v_accvgpr_write_b32 acc41, v13                     // 
v_accvgpr_write_b32 acc73, v17                     // 
v_accvgpr_write_b32 acc105, v21                    // 
v_accvgpr_write_b32 acc137, v25                    // 
v_accvgpr_write_b32 acc169, v29                    // 
v_accvgpr_write_b32 acc201, v33                    // 
v_accvgpr_write_b32 acc233, v37                    // 
v_accvgpr_write_b32 acc10, v10                     // 
v_accvgpr_write_b32 acc42, v14                     // 
v_accvgpr_write_b32 acc74, v18                     // 
v_accvgpr_write_b32 acc106, v22                    // 
v_accvgpr_write_b32 acc138, v26                    // 
v_accvgpr_write_b32 acc170, v30                    // 
v_accvgpr_write_b32 acc202, v34                    // 
v_accvgpr_write_b32 acc234, v38                    // 
v_accvgpr_write_b32 acc11, v11                     // 
v_accvgpr_write_b32 acc43, v15                     // 
v_accvgpr_write_b32 acc75, v19                     // 
v_accvgpr_write_b32 acc107, v23                    // 
v_accvgpr_write_b32 acc139, v27                    // 
v_accvgpr_write_b32 acc171, v31                    // 
v_accvgpr_write_b32 acc203, v35                    // 
v_accvgpr_write_b32 acc235, v39                    // 
s_mov_b64 s[54:55], 0xFFFFFFFFFFFFFFFF             // to restore all threads active
s_or_saveexec_b64 vcc, s[54:55]                    // all threads active
s_nop 3                                            // wait for exec mask
v_accvgpr_read_b32 v8, acc13                       // 
v_accvgpr_read_b32 v12, acc45                      // 
v_accvgpr_read_b32 v16, acc77                      // 
v_accvgpr_read_b32 v20, acc109                     // 
v_accvgpr_read_b32 v24, acc141                     // 
v_accvgpr_read_b32 v28, acc173                     // 
v_accvgpr_read_b32 v32, acc205                     // 
v_accvgpr_read_b32 v36, acc237                     // 
v_accvgpr_read_b32 v9, acc14                       // 
v_accvgpr_read_b32 v13, acc46                      // 
v_accvgpr_read_b32 v17, acc78                      // 
v_accvgpr_read_b32 v21, acc110                     // 
v_accvgpr_read_b32 v25, acc142                     // 
v_accvgpr_read_b32 v29, acc174                     // 
v_accvgpr_read_b32 v33, acc206                     // 
v_accvgpr_read_b32 v37, acc238                     // 
v_accvgpr_read_b32 v10, acc15                      // 
v_accvgpr_read_b32 v14, acc47                      // 
v_accvgpr_read_b32 v18, acc79                      // 
v_accvgpr_read_b32 v22, acc111                     // 
v_accvgpr_read_b32 v26, acc143                     // 
v_accvgpr_read_b32 v30, acc175                     // 
v_accvgpr_read_b32 v34, acc207                     // 
v_accvgpr_read_b32 v38, acc239                     // 
v_accvgpr_read_b32 v11, acc12                      // 
v_accvgpr_read_b32 v15, acc44                      // 
v_accvgpr_read_b32 v19, acc76                      // 
v_accvgpr_read_b32 v23, acc108                     // 
v_accvgpr_read_b32 v27, acc140                     // 
v_accvgpr_read_b32 v31, acc172                     // 
v_accvgpr_read_b32 v35, acc204                     // 
v_accvgpr_read_b32 v39, acc236                     // 
s_nop 1                                            // v_accvgpr read vgpr after write vgpr: 2 wait states
ds_bpermute_b32 v8, v6, v8, offset:128             // permute edge values
ds_bpermute_b32 v12, v6, v12, offset:128           // permute edge values
ds_bpermute_b32 v16, v6, v16, offset:128           // permute edge values
	;; [unrolled: 1-line block ×7, first 2 shown]
ds_bpermute_b32 v9, v6, v9, offset:128             // permute edge values
ds_bpermute_b32 v13, v6, v13, offset:128           // permute edge values
ds_bpermute_b32 v17, v6, v17, offset:128           // permute edge values
	;; [unrolled: 1-line block ×15, first 2 shown]
s_waitcnt lgkmcnt(0)                               // wait for swizzle operation
s_mov_b32 s54, 1                                   // which thread need to shfit in this block
_v_cmpx_eq_u32 s[54:55], v7, s54                   // is thread in edge glvw region
s_nop 3                                            // wait for exec mask
v_accvgpr_write_b32 acc8, v8                       // 
v_accvgpr_write_b32 acc40, v12                     // 
v_accvgpr_write_b32 acc72, v16                     // 
v_accvgpr_write_b32 acc104, v20                    // 
v_accvgpr_write_b32 acc136, v24                    // 
v_accvgpr_write_b32 acc168, v28                    // 
v_accvgpr_write_b32 acc200, v32                    // 
v_accvgpr_write_b32 acc232, v36                    // 
v_accvgpr_write_b32 acc9, v9                       // 
v_accvgpr_write_b32 acc41, v13                     // 
v_accvgpr_write_b32 acc73, v17                     // 
v_accvgpr_write_b32 acc105, v21                    // 
v_accvgpr_write_b32 acc137, v25                    // 
v_accvgpr_write_b32 acc169, v29                    // 
v_accvgpr_write_b32 acc201, v33                    // 
v_accvgpr_write_b32 acc233, v37                    // 
v_accvgpr_write_b32 acc10, v10                     // 
v_accvgpr_write_b32 acc42, v14                     // 
v_accvgpr_write_b32 acc74, v18                     // 
v_accvgpr_write_b32 acc106, v22                    // 
v_accvgpr_write_b32 acc138, v26                    // 
v_accvgpr_write_b32 acc170, v30                    // 
v_accvgpr_write_b32 acc202, v34                    // 
v_accvgpr_write_b32 acc234, v38                    // 
v_accvgpr_write_b32 acc11, v11                     // 
v_accvgpr_write_b32 acc43, v15                     // 
v_accvgpr_write_b32 acc75, v19                     // 
v_accvgpr_write_b32 acc107, v23                    // 
v_accvgpr_write_b32 acc139, v27                    // 
v_accvgpr_write_b32 acc171, v31                    // 
v_accvgpr_write_b32 acc203, v35                    // 
v_accvgpr_write_b32 acc235, v39                    // 
s_mov_b64 s[54:55], 0xFFFFFFFFFFFFFFFF             // to restore all threads active
s_or_saveexec_b64 vcc, s[54:55]                    // all threads active
s_nop 3                                            // wait for exec mask
v_accvgpr_read_b32 v8, acc13                       // 
v_accvgpr_read_b32 v12, acc45                      // 
v_accvgpr_read_b32 v16, acc77                      // 
v_accvgpr_read_b32 v20, acc109                     // 
v_accvgpr_read_b32 v24, acc141                     // 
v_accvgpr_read_b32 v28, acc173                     // 
v_accvgpr_read_b32 v32, acc205                     // 
v_accvgpr_read_b32 v36, acc237                     // 
v_accvgpr_read_b32 v9, acc14                       // 
v_accvgpr_read_b32 v13, acc46                      // 
v_accvgpr_read_b32 v17, acc78                      // 
v_accvgpr_read_b32 v21, acc110                     // 
v_accvgpr_read_b32 v25, acc142                     // 
v_accvgpr_read_b32 v29, acc174                     // 
v_accvgpr_read_b32 v33, acc206                     // 
v_accvgpr_read_b32 v37, acc238                     // 
v_accvgpr_read_b32 v10, acc15                      // 
v_accvgpr_read_b32 v14, acc47                      // 
v_accvgpr_read_b32 v18, acc79                      // 
v_accvgpr_read_b32 v22, acc111                     // 
v_accvgpr_read_b32 v26, acc143                     // 
v_accvgpr_read_b32 v30, acc175                     // 
v_accvgpr_read_b32 v34, acc207                     // 
v_accvgpr_read_b32 v38, acc239                     // 
s_nop 1                                            // v_accvgpr read vgpr after write vgpr: 2 wait states
ds_bpermute_b32 v8, v6, v8, offset:128             // permute edge values
ds_bpermute_b32 v12, v6, v12, offset:128           // permute edge values
ds_bpermute_b32 v16, v6, v16, offset:128           // permute edge values
	;; [unrolled: 1-line block ×7, first 2 shown]
ds_bpermute_b32 v9, v6, v9, offset:128             // permute edge values
ds_bpermute_b32 v13, v6, v13, offset:128           // permute edge values
ds_bpermute_b32 v17, v6, v17, offset:128           // permute edge values
	;; [unrolled: 1-line block ×15, first 2 shown]
s_waitcnt lgkmcnt(0)                               // wait for swizzle operation
s_mov_b32 s54, 0                                   // which thread need to shfit in this block
_v_cmpx_eq_u32 s[54:55], v7, s54                   // is thread in edge glvw region
s_nop 3                                            // wait for exec mask
v_accvgpr_write_b32 acc12, v8                      // 
v_accvgpr_write_b32 acc44, v12                     // 
v_accvgpr_write_b32 acc76, v16                     // 
v_accvgpr_write_b32 acc108, v20                    // 
v_accvgpr_write_b32 acc140, v24                    // 
v_accvgpr_write_b32 acc172, v28                    // 
v_accvgpr_write_b32 acc204, v32                    // 
v_accvgpr_write_b32 acc236, v36                    // 
v_accvgpr_write_b32 acc13, v9                      // 
v_accvgpr_write_b32 acc45, v13                     // 
v_accvgpr_write_b32 acc77, v17                     // 
v_accvgpr_write_b32 acc109, v21                    // 
v_accvgpr_write_b32 acc141, v25                    // 
v_accvgpr_write_b32 acc173, v29                    // 
v_accvgpr_write_b32 acc205, v33                    // 
v_accvgpr_write_b32 acc237, v37                    // 
v_accvgpr_write_b32 acc14, v10                     // 
v_accvgpr_write_b32 acc46, v14                     // 
v_accvgpr_write_b32 acc78, v18                     // 
v_accvgpr_write_b32 acc110, v22                    // 
v_accvgpr_write_b32 acc142, v26                    // 
v_accvgpr_write_b32 acc174, v30                    // 
v_accvgpr_write_b32 acc206, v34                    // 
v_accvgpr_write_b32 acc238, v38                    // 
s_mov_b64 s[54:55], 0xFFFFFFFFFFFFFFFF             // to restore all threads active
s_or_saveexec_b64 vcc, s[54:55]                    // all threads active
s_nop 3                                            // wait for exec mask
s_branch label_0106                                // done

/******************************************/
/* shift d0 shift=11 glvwblk=0            */
/******************************************/
label_0084:
v_and_b32 v6, 63, v[vgprSerial]                    // permute register between threads
v_lshlrev_b32 v6, 0x2, v6                          // permute register between threads
v_lshrrev_b32 v0, 5, v[vgprSerial]                 // v0 = v[vgprSerial] / 32
v_and_b32 v7, 1, v0                                // v7 = v0 % 2
v_accvgpr_read_b32 v8, acc17                       // 
v_accvgpr_read_b32 v12, acc49                      // 
v_accvgpr_read_b32 v16, acc81                      // 
v_accvgpr_read_b32 v20, acc113                     // 
v_accvgpr_read_b32 v24, acc145                     // 
v_accvgpr_read_b32 v28, acc177                     // 
v_accvgpr_read_b32 v32, acc209                     // 
v_accvgpr_read_b32 v36, acc241                     // 
v_accvgpr_read_b32 v9, acc18                       // 
v_accvgpr_read_b32 v13, acc50                      // 
v_accvgpr_read_b32 v17, acc82                      // 
v_accvgpr_read_b32 v21, acc114                     // 
v_accvgpr_read_b32 v25, acc146                     // 
v_accvgpr_read_b32 v29, acc178                     // 
v_accvgpr_read_b32 v33, acc210                     // 
v_accvgpr_read_b32 v37, acc242                     // 
v_accvgpr_read_b32 v10, acc19                      // 
v_accvgpr_read_b32 v14, acc51                      // 
v_accvgpr_read_b32 v18, acc83                      // 
v_accvgpr_read_b32 v22, acc115                     // 
v_accvgpr_read_b32 v26, acc147                     // 
v_accvgpr_read_b32 v30, acc179                     // 
v_accvgpr_read_b32 v34, acc211                     // 
v_accvgpr_read_b32 v38, acc243                     // 
v_accvgpr_read_b32 v11, acc20                      // 
v_accvgpr_read_b32 v15, acc52                      // 
v_accvgpr_read_b32 v19, acc84                      // 
v_accvgpr_read_b32 v23, acc116                     // 
v_accvgpr_read_b32 v27, acc148                     // 
v_accvgpr_read_b32 v31, acc180                     // 
v_accvgpr_read_b32 v35, acc212                     // 
v_accvgpr_read_b32 v39, acc244                     // 
s_nop 1                                            // v_accvgpr read vgpr after write vgpr: 2 wait states
ds_bpermute_b32 v8, v6, v8, offset:128             // permute edge values
ds_bpermute_b32 v12, v6, v12, offset:128           // permute edge values
ds_bpermute_b32 v16, v6, v16, offset:128           // permute edge values
	;; [unrolled: 1-line block ×7, first 2 shown]
ds_bpermute_b32 v9, v6, v9, offset:128             // permute edge values
ds_bpermute_b32 v13, v6, v13, offset:128           // permute edge values
ds_bpermute_b32 v17, v6, v17, offset:128           // permute edge values
	;; [unrolled: 1-line block ×15, first 2 shown]
s_waitcnt lgkmcnt(0)                               // wait for swizzle operation
s_mov_b32 s54, 0                                   // which thread need to shfit in this block
_v_cmpx_eq_u32 s[54:55], v7, s54                   // is thread in edge glvw region
s_nop 3                                            // wait for exec mask
v_accvgpr_write_b32 acc16, v8                      // 
v_accvgpr_write_b32 acc48, v12                     // 
v_accvgpr_write_b32 acc80, v16                     // 
v_accvgpr_write_b32 acc112, v20                    // 
v_accvgpr_write_b32 acc144, v24                    // 
v_accvgpr_write_b32 acc176, v28                    // 
v_accvgpr_write_b32 acc208, v32                    // 
v_accvgpr_write_b32 acc240, v36                    // 
v_accvgpr_write_b32 acc17, v9                      // 
v_accvgpr_write_b32 acc49, v13                     // 
v_accvgpr_write_b32 acc81, v17                     // 
v_accvgpr_write_b32 acc113, v21                    // 
v_accvgpr_write_b32 acc145, v25                    // 
v_accvgpr_write_b32 acc177, v29                    // 
v_accvgpr_write_b32 acc209, v33                    // 
v_accvgpr_write_b32 acc241, v37                    // 
v_accvgpr_write_b32 acc18, v10                     // 
v_accvgpr_write_b32 acc50, v14                     // 
v_accvgpr_write_b32 acc82, v18                     // 
v_accvgpr_write_b32 acc114, v22                    // 
v_accvgpr_write_b32 acc146, v26                    // 
v_accvgpr_write_b32 acc178, v30                    // 
v_accvgpr_write_b32 acc210, v34                    // 
v_accvgpr_write_b32 acc242, v38                    // 
v_accvgpr_write_b32 acc19, v11                     // 
v_accvgpr_write_b32 acc51, v15                     // 
v_accvgpr_write_b32 acc83, v19                     // 
v_accvgpr_write_b32 acc115, v23                    // 
v_accvgpr_write_b32 acc147, v27                    // 
v_accvgpr_write_b32 acc179, v31                    // 
v_accvgpr_write_b32 acc211, v35                    // 
v_accvgpr_write_b32 acc243, v39                    // 
s_mov_b64 s[54:55], 0xFFFFFFFFFFFFFFFF             // to restore all threads active
s_or_saveexec_b64 vcc, s[54:55]                    // all threads active
s_nop 3                                            // wait for exec mask
v_accvgpr_read_b32 v8, acc21                       // 
v_accvgpr_read_b32 v12, acc53                      // 
v_accvgpr_read_b32 v16, acc85                      // 
v_accvgpr_read_b32 v20, acc117                     // 
v_accvgpr_read_b32 v24, acc149                     // 
v_accvgpr_read_b32 v28, acc181                     // 
v_accvgpr_read_b32 v32, acc213                     // 
v_accvgpr_read_b32 v36, acc245                     // 
v_accvgpr_read_b32 v9, acc22                       // 
v_accvgpr_read_b32 v13, acc54                      // 
v_accvgpr_read_b32 v17, acc86                      // 
v_accvgpr_read_b32 v21, acc118                     // 
v_accvgpr_read_b32 v25, acc150                     // 
v_accvgpr_read_b32 v29, acc182                     // 
v_accvgpr_read_b32 v33, acc214                     // 
v_accvgpr_read_b32 v37, acc246                     // 
v_accvgpr_read_b32 v10, acc23                      // 
v_accvgpr_read_b32 v14, acc55                      // 
v_accvgpr_read_b32 v18, acc87                      // 
v_accvgpr_read_b32 v22, acc119                     // 
v_accvgpr_read_b32 v26, acc151                     // 
v_accvgpr_read_b32 v30, acc183                     // 
v_accvgpr_read_b32 v34, acc215                     // 
v_accvgpr_read_b32 v38, acc247                     // 
v_accvgpr_read_b32 v11, acc20                      // 
v_accvgpr_read_b32 v15, acc52                      // 
v_accvgpr_read_b32 v19, acc84                      // 
v_accvgpr_read_b32 v23, acc116                     // 
v_accvgpr_read_b32 v27, acc148                     // 
v_accvgpr_read_b32 v31, acc180                     // 
v_accvgpr_read_b32 v35, acc212                     // 
v_accvgpr_read_b32 v39, acc244                     // 
s_nop 1                                            // v_accvgpr read vgpr after write vgpr: 2 wait states
ds_bpermute_b32 v8, v6, v8, offset:128             // permute edge values
ds_bpermute_b32 v12, v6, v12, offset:128           // permute edge values
ds_bpermute_b32 v16, v6, v16, offset:128           // permute edge values
	;; [unrolled: 1-line block ×7, first 2 shown]
ds_bpermute_b32 v9, v6, v9, offset:128             // permute edge values
ds_bpermute_b32 v13, v6, v13, offset:128           // permute edge values
ds_bpermute_b32 v17, v6, v17, offset:128           // permute edge values
	;; [unrolled: 1-line block ×15, first 2 shown]
s_waitcnt lgkmcnt(0)                               // wait for swizzle operation
s_mov_b32 s54, 1                                   // which thread need to shfit in this block
_v_cmpx_eq_u32 s[54:55], v7, s54                   // is thread in edge glvw region
s_nop 3                                            // wait for exec mask
v_accvgpr_write_b32 acc16, v8                      // 
v_accvgpr_write_b32 acc48, v12                     // 
v_accvgpr_write_b32 acc80, v16                     // 
v_accvgpr_write_b32 acc112, v20                    // 
v_accvgpr_write_b32 acc144, v24                    // 
v_accvgpr_write_b32 acc176, v28                    // 
v_accvgpr_write_b32 acc208, v32                    // 
v_accvgpr_write_b32 acc240, v36                    // 
v_accvgpr_write_b32 acc17, v9                      // 
v_accvgpr_write_b32 acc49, v13                     // 
v_accvgpr_write_b32 acc81, v17                     // 
v_accvgpr_write_b32 acc113, v21                    // 
v_accvgpr_write_b32 acc145, v25                    // 
v_accvgpr_write_b32 acc177, v29                    // 
v_accvgpr_write_b32 acc209, v33                    // 
v_accvgpr_write_b32 acc241, v37                    // 
v_accvgpr_write_b32 acc18, v10                     // 
v_accvgpr_write_b32 acc50, v14                     // 
v_accvgpr_write_b32 acc82, v18                     // 
v_accvgpr_write_b32 acc114, v22                    // 
v_accvgpr_write_b32 acc146, v26                    // 
v_accvgpr_write_b32 acc178, v30                    // 
v_accvgpr_write_b32 acc210, v34                    // 
v_accvgpr_write_b32 acc242, v38                    // 
v_accvgpr_write_b32 acc19, v11                     // 
v_accvgpr_write_b32 acc51, v15                     // 
v_accvgpr_write_b32 acc83, v19                     // 
v_accvgpr_write_b32 acc115, v23                    // 
v_accvgpr_write_b32 acc147, v27                    // 
v_accvgpr_write_b32 acc179, v31                    // 
v_accvgpr_write_b32 acc211, v35                    // 
v_accvgpr_write_b32 acc243, v39                    // 
s_mov_b64 s[54:55], 0xFFFFFFFFFFFFFFFF             // to restore all threads active
s_or_saveexec_b64 vcc, s[54:55]                    // all threads active
s_nop 3                                            // wait for exec mask
v_accvgpr_read_b32 v8, acc21                       // 
v_accvgpr_read_b32 v12, acc53                      // 
v_accvgpr_read_b32 v16, acc85                      // 
v_accvgpr_read_b32 v20, acc117                     // 
v_accvgpr_read_b32 v24, acc149                     // 
v_accvgpr_read_b32 v28, acc181                     // 
v_accvgpr_read_b32 v32, acc213                     // 
v_accvgpr_read_b32 v36, acc245                     // 
v_accvgpr_read_b32 v9, acc22                       // 
v_accvgpr_read_b32 v13, acc54                      // 
v_accvgpr_read_b32 v17, acc86                      // 
v_accvgpr_read_b32 v21, acc118                     // 
v_accvgpr_read_b32 v25, acc150                     // 
v_accvgpr_read_b32 v29, acc182                     // 
v_accvgpr_read_b32 v33, acc214                     // 
v_accvgpr_read_b32 v37, acc246                     // 
v_accvgpr_read_b32 v10, acc23                      // 
v_accvgpr_read_b32 v14, acc55                      // 
v_accvgpr_read_b32 v18, acc87                      // 
v_accvgpr_read_b32 v22, acc119                     // 
v_accvgpr_read_b32 v26, acc151                     // 
v_accvgpr_read_b32 v30, acc183                     // 
v_accvgpr_read_b32 v34, acc215                     // 
v_accvgpr_read_b32 v38, acc247                     // 
s_nop 1                                            // v_accvgpr read vgpr after write vgpr: 2 wait states
ds_bpermute_b32 v8, v6, v8, offset:128             // permute edge values
ds_bpermute_b32 v12, v6, v12, offset:128           // permute edge values
ds_bpermute_b32 v16, v6, v16, offset:128           // permute edge values
	;; [unrolled: 1-line block ×7, first 2 shown]
ds_bpermute_b32 v9, v6, v9, offset:128             // permute edge values
ds_bpermute_b32 v13, v6, v13, offset:128           // permute edge values
ds_bpermute_b32 v17, v6, v17, offset:128           // permute edge values
ds_bpermute_b32 v21, v6, v21, offset:128           // permute edge values
ds_bpermute_b32 v25, v6, v25, offset:128           // permute edge values
ds_bpermute_b32 v29, v6, v29, offset:128           // permute edge values
ds_bpermute_b32 v33, v6, v33, offset:128           // permute edge values
ds_bpermute_b32 v37, v6, v37, offset:128           // permute edge values
ds_bpermute_b32 v10, v6, v10, offset:128           // permute edge values
ds_bpermute_b32 v14, v6, v14, offset:128           // permute edge values
ds_bpermute_b32 v18, v6, v18, offset:128           // permute edge values
ds_bpermute_b32 v22, v6, v22, offset:128           // permute edge values
ds_bpermute_b32 v26, v6, v26, offset:128           // permute edge values
ds_bpermute_b32 v30, v6, v30, offset:128           // permute edge values
ds_bpermute_b32 v34, v6, v34, offset:128           // permute edge values
ds_bpermute_b32 v38, v6, v38, offset:128           // permute edge values
s_waitcnt lgkmcnt(0)                               // wait for swizzle operation
s_mov_b32 s54, 0                                   // which thread need to shfit in this block
_v_cmpx_eq_u32 s[54:55], v7, s54                   // is thread in edge glvw region
s_nop 3                                            // wait for exec mask
v_accvgpr_write_b32 acc20, v8                      // 
v_accvgpr_write_b32 acc52, v12                     // 
v_accvgpr_write_b32 acc84, v16                     // 
v_accvgpr_write_b32 acc116, v20                    // 
v_accvgpr_write_b32 acc148, v24                    // 
v_accvgpr_write_b32 acc180, v28                    // 
v_accvgpr_write_b32 acc212, v32                    // 
v_accvgpr_write_b32 acc244, v36                    // 
v_accvgpr_write_b32 acc21, v9                      // 
v_accvgpr_write_b32 acc53, v13                     // 
v_accvgpr_write_b32 acc85, v17                     // 
v_accvgpr_write_b32 acc117, v21                    // 
v_accvgpr_write_b32 acc149, v25                    // 
v_accvgpr_write_b32 acc181, v29                    // 
v_accvgpr_write_b32 acc213, v33                    // 
v_accvgpr_write_b32 acc245, v37                    // 
v_accvgpr_write_b32 acc22, v10                     // 
v_accvgpr_write_b32 acc54, v14                     // 
v_accvgpr_write_b32 acc86, v18                     // 
v_accvgpr_write_b32 acc118, v22                    // 
v_accvgpr_write_b32 acc150, v26                    // 
v_accvgpr_write_b32 acc182, v30                    // 
v_accvgpr_write_b32 acc214, v34                    // 
v_accvgpr_write_b32 acc246, v38                    // 
s_mov_b64 s[54:55], 0xFFFFFFFFFFFFFFFF             // to restore all threads active
s_or_saveexec_b64 vcc, s[54:55]                    // all threads active
s_nop 3                                            // wait for exec mask
s_branch label_0106                                // done

/******************************************/
/* shift d0 shift=11 glvwblk=1            */
/******************************************/
label_0085:
v_and_b32 v6, 63, v[vgprSerial]                    // permute register between threads
v_lshlrev_b32 v6, 0x2, v6                          // permute register between threads
v_lshrrev_b32 v0, 5, v[vgprSerial]                 // v0 = v[vgprSerial] / 32
v_and_b32 v7, 1, v0                                // v7 = v0 % 2
v_accvgpr_read_b32 v8, acc25                       // 
v_accvgpr_read_b32 v12, acc57                      // 
v_accvgpr_read_b32 v16, acc89                      // 
v_accvgpr_read_b32 v20, acc121                     // 
v_accvgpr_read_b32 v24, acc153                     // 
v_accvgpr_read_b32 v28, acc185                     // 
v_accvgpr_read_b32 v32, acc217                     // 
v_accvgpr_read_b32 v36, acc249                     // 
v_accvgpr_read_b32 v9, acc26                       // 
v_accvgpr_read_b32 v13, acc58                      // 
v_accvgpr_read_b32 v17, acc90                      // 
v_accvgpr_read_b32 v21, acc122                     // 
v_accvgpr_read_b32 v25, acc154                     // 
v_accvgpr_read_b32 v29, acc186                     // 
v_accvgpr_read_b32 v33, acc218                     // 
v_accvgpr_read_b32 v37, acc250                     // 
v_accvgpr_read_b32 v10, acc27                      // 
v_accvgpr_read_b32 v14, acc59                      // 
v_accvgpr_read_b32 v18, acc91                      // 
v_accvgpr_read_b32 v22, acc123                     // 
v_accvgpr_read_b32 v26, acc155                     // 
v_accvgpr_read_b32 v30, acc187                     // 
v_accvgpr_read_b32 v34, acc219                     // 
v_accvgpr_read_b32 v38, acc251                     // 
v_accvgpr_read_b32 v11, acc28                      // 
v_accvgpr_read_b32 v15, acc60                      // 
v_accvgpr_read_b32 v19, acc92                      // 
v_accvgpr_read_b32 v23, acc124                     // 
v_accvgpr_read_b32 v27, acc156                     // 
v_accvgpr_read_b32 v31, acc188                     // 
v_accvgpr_read_b32 v35, acc220                     // 
v_accvgpr_read_b32 v39, acc252                     // 
s_nop 1                                            // v_accvgpr read vgpr after write vgpr: 2 wait states
ds_bpermute_b32 v8, v6, v8, offset:128             // permute edge values
ds_bpermute_b32 v12, v6, v12, offset:128           // permute edge values
ds_bpermute_b32 v16, v6, v16, offset:128           // permute edge values
	;; [unrolled: 1-line block ×7, first 2 shown]
ds_bpermute_b32 v9, v6, v9, offset:128             // permute edge values
ds_bpermute_b32 v13, v6, v13, offset:128           // permute edge values
ds_bpermute_b32 v17, v6, v17, offset:128           // permute edge values
	;; [unrolled: 1-line block ×15, first 2 shown]
s_waitcnt lgkmcnt(0)                               // wait for swizzle operation
s_mov_b32 s54, 0                                   // which thread need to shfit in this block
_v_cmpx_eq_u32 s[54:55], v7, s54                   // is thread in edge glvw region
s_nop 3                                            // wait for exec mask
v_accvgpr_write_b32 acc24, v8                      // 
v_accvgpr_write_b32 acc56, v12                     // 
v_accvgpr_write_b32 acc88, v16                     // 
v_accvgpr_write_b32 acc120, v20                    // 
v_accvgpr_write_b32 acc152, v24                    // 
v_accvgpr_write_b32 acc184, v28                    // 
v_accvgpr_write_b32 acc216, v32                    // 
v_accvgpr_write_b32 acc248, v36                    // 
v_accvgpr_write_b32 acc25, v9                      // 
v_accvgpr_write_b32 acc57, v13                     // 
v_accvgpr_write_b32 acc89, v17                     // 
v_accvgpr_write_b32 acc121, v21                    // 
v_accvgpr_write_b32 acc153, v25                    // 
v_accvgpr_write_b32 acc185, v29                    // 
v_accvgpr_write_b32 acc217, v33                    // 
v_accvgpr_write_b32 acc249, v37                    // 
v_accvgpr_write_b32 acc26, v10                     // 
v_accvgpr_write_b32 acc58, v14                     // 
v_accvgpr_write_b32 acc90, v18                     // 
v_accvgpr_write_b32 acc122, v22                    // 
v_accvgpr_write_b32 acc154, v26                    // 
v_accvgpr_write_b32 acc186, v30                    // 
v_accvgpr_write_b32 acc218, v34                    // 
v_accvgpr_write_b32 acc250, v38                    // 
v_accvgpr_write_b32 acc27, v11                     // 
v_accvgpr_write_b32 acc59, v15                     // 
v_accvgpr_write_b32 acc91, v19                     // 
v_accvgpr_write_b32 acc123, v23                    // 
v_accvgpr_write_b32 acc155, v27                    // 
v_accvgpr_write_b32 acc187, v31                    // 
v_accvgpr_write_b32 acc219, v35                    // 
v_accvgpr_write_b32 acc251, v39                    // 
s_mov_b64 s[54:55], 0xFFFFFFFFFFFFFFFF             // to restore all threads active
s_or_saveexec_b64 vcc, s[54:55]                    // all threads active
s_nop 3                                            // wait for exec mask
v_accvgpr_read_b32 v8, acc29                       // 
v_accvgpr_read_b32 v12, acc61                      // 
v_accvgpr_read_b32 v16, acc93                      // 
v_accvgpr_read_b32 v20, acc125                     // 
v_accvgpr_read_b32 v24, acc157                     // 
v_accvgpr_read_b32 v28, acc189                     // 
v_accvgpr_read_b32 v32, acc221                     // 
v_accvgpr_read_b32 v36, acc253                     // 
v_accvgpr_read_b32 v9, acc30                       // 
v_accvgpr_read_b32 v13, acc62                      // 
v_accvgpr_read_b32 v17, acc94                      // 
v_accvgpr_read_b32 v21, acc126                     // 
v_accvgpr_read_b32 v25, acc158                     // 
v_accvgpr_read_b32 v29, acc190                     // 
v_accvgpr_read_b32 v33, acc222                     // 
v_accvgpr_read_b32 v37, acc254                     // 
v_accvgpr_read_b32 v10, acc31                      // 
v_accvgpr_read_b32 v14, acc63                      // 
v_accvgpr_read_b32 v18, acc95                      // 
v_accvgpr_read_b32 v22, acc127                     // 
v_accvgpr_read_b32 v26, acc159                     // 
v_accvgpr_read_b32 v30, acc191                     // 
v_accvgpr_read_b32 v34, acc223                     // 
v_accvgpr_read_b32 v38, acc255                     // 
v_accvgpr_read_b32 v11, acc28                      // 
v_accvgpr_read_b32 v15, acc60                      // 
v_accvgpr_read_b32 v19, acc92                      // 
v_accvgpr_read_b32 v23, acc124                     // 
v_accvgpr_read_b32 v27, acc156                     // 
v_accvgpr_read_b32 v31, acc188                     // 
v_accvgpr_read_b32 v35, acc220                     // 
v_accvgpr_read_b32 v39, acc252                     // 
s_nop 1                                            // v_accvgpr read vgpr after write vgpr: 2 wait states
ds_bpermute_b32 v8, v6, v8, offset:128             // permute edge values
ds_bpermute_b32 v12, v6, v12, offset:128           // permute edge values
ds_bpermute_b32 v16, v6, v16, offset:128           // permute edge values
	;; [unrolled: 1-line block ×7, first 2 shown]
ds_bpermute_b32 v9, v6, v9, offset:128             // permute edge values
ds_bpermute_b32 v13, v6, v13, offset:128           // permute edge values
ds_bpermute_b32 v17, v6, v17, offset:128           // permute edge values
	;; [unrolled: 1-line block ×15, first 2 shown]
s_waitcnt lgkmcnt(0)                               // wait for swizzle operation
s_mov_b32 s54, 1                                   // which thread need to shfit in this block
_v_cmpx_eq_u32 s[54:55], v7, s54                   // is thread in edge glvw region
s_nop 3                                            // wait for exec mask
v_accvgpr_write_b32 acc24, v8                      // 
v_accvgpr_write_b32 acc56, v12                     // 
v_accvgpr_write_b32 acc88, v16                     // 
v_accvgpr_write_b32 acc120, v20                    // 
v_accvgpr_write_b32 acc152, v24                    // 
v_accvgpr_write_b32 acc184, v28                    // 
v_accvgpr_write_b32 acc216, v32                    // 
v_accvgpr_write_b32 acc248, v36                    // 
v_accvgpr_write_b32 acc25, v9                      // 
v_accvgpr_write_b32 acc57, v13                     // 
v_accvgpr_write_b32 acc89, v17                     // 
v_accvgpr_write_b32 acc121, v21                    // 
v_accvgpr_write_b32 acc153, v25                    // 
v_accvgpr_write_b32 acc185, v29                    // 
v_accvgpr_write_b32 acc217, v33                    // 
v_accvgpr_write_b32 acc249, v37                    // 
v_accvgpr_write_b32 acc26, v10                     // 
v_accvgpr_write_b32 acc58, v14                     // 
v_accvgpr_write_b32 acc90, v18                     // 
v_accvgpr_write_b32 acc122, v22                    // 
v_accvgpr_write_b32 acc154, v26                    // 
v_accvgpr_write_b32 acc186, v30                    // 
v_accvgpr_write_b32 acc218, v34                    // 
v_accvgpr_write_b32 acc250, v38                    // 
v_accvgpr_write_b32 acc27, v11                     // 
v_accvgpr_write_b32 acc59, v15                     // 
v_accvgpr_write_b32 acc91, v19                     // 
v_accvgpr_write_b32 acc123, v23                    // 
v_accvgpr_write_b32 acc155, v27                    // 
v_accvgpr_write_b32 acc187, v31                    // 
v_accvgpr_write_b32 acc219, v35                    // 
v_accvgpr_write_b32 acc251, v39                    // 
s_mov_b64 s[54:55], 0xFFFFFFFFFFFFFFFF             // to restore all threads active
s_or_saveexec_b64 vcc, s[54:55]                    // all threads active
s_nop 3                                            // wait for exec mask
v_accvgpr_read_b32 v8, acc29                       // 
v_accvgpr_read_b32 v12, acc61                      // 
v_accvgpr_read_b32 v16, acc93                      // 
v_accvgpr_read_b32 v20, acc125                     // 
v_accvgpr_read_b32 v24, acc157                     // 
v_accvgpr_read_b32 v28, acc189                     // 
v_accvgpr_read_b32 v32, acc221                     // 
v_accvgpr_read_b32 v36, acc253                     // 
v_accvgpr_read_b32 v9, acc30                       // 
v_accvgpr_read_b32 v13, acc62                      // 
v_accvgpr_read_b32 v17, acc94                      // 
v_accvgpr_read_b32 v21, acc126                     // 
v_accvgpr_read_b32 v25, acc158                     // 
v_accvgpr_read_b32 v29, acc190                     // 
v_accvgpr_read_b32 v33, acc222                     // 
v_accvgpr_read_b32 v37, acc254                     // 
v_accvgpr_read_b32 v10, acc31                      // 
v_accvgpr_read_b32 v14, acc63                      // 
v_accvgpr_read_b32 v18, acc95                      // 
v_accvgpr_read_b32 v22, acc127                     // 
v_accvgpr_read_b32 v26, acc159                     // 
v_accvgpr_read_b32 v30, acc191                     // 
v_accvgpr_read_b32 v34, acc223                     // 
v_accvgpr_read_b32 v38, acc255                     // 
s_nop 1                                            // v_accvgpr read vgpr after write vgpr: 2 wait states
ds_bpermute_b32 v8, v6, v8, offset:128             // permute edge values
ds_bpermute_b32 v12, v6, v12, offset:128           // permute edge values
ds_bpermute_b32 v16, v6, v16, offset:128           // permute edge values
	;; [unrolled: 1-line block ×7, first 2 shown]
ds_bpermute_b32 v9, v6, v9, offset:128             // permute edge values
ds_bpermute_b32 v13, v6, v13, offset:128           // permute edge values
ds_bpermute_b32 v17, v6, v17, offset:128           // permute edge values
	;; [unrolled: 1-line block ×15, first 2 shown]
s_waitcnt lgkmcnt(0)                               // wait for swizzle operation
s_mov_b32 s54, 0                                   // which thread need to shfit in this block
_v_cmpx_eq_u32 s[54:55], v7, s54                   // is thread in edge glvw region
s_nop 3                                            // wait for exec mask
v_accvgpr_write_b32 acc28, v8                      // 
v_accvgpr_write_b32 acc60, v12                     // 
v_accvgpr_write_b32 acc92, v16                     // 
v_accvgpr_write_b32 acc124, v20                    // 
v_accvgpr_write_b32 acc156, v24                    // 
v_accvgpr_write_b32 acc188, v28                    // 
v_accvgpr_write_b32 acc220, v32                    // 
v_accvgpr_write_b32 acc252, v36                    // 
v_accvgpr_write_b32 acc29, v9                      // 
v_accvgpr_write_b32 acc61, v13                     // 
v_accvgpr_write_b32 acc93, v17                     // 
v_accvgpr_write_b32 acc125, v21                    // 
v_accvgpr_write_b32 acc157, v25                    // 
v_accvgpr_write_b32 acc189, v29                    // 
v_accvgpr_write_b32 acc221, v33                    // 
v_accvgpr_write_b32 acc253, v37                    // 
v_accvgpr_write_b32 acc30, v10                     // 
v_accvgpr_write_b32 acc62, v14                     // 
v_accvgpr_write_b32 acc94, v18                     // 
v_accvgpr_write_b32 acc126, v22                    // 
v_accvgpr_write_b32 acc158, v26                    // 
v_accvgpr_write_b32 acc190, v30                    // 
v_accvgpr_write_b32 acc222, v34                    // 
v_accvgpr_write_b32 acc254, v38                    // 
s_mov_b64 s[54:55], 0xFFFFFFFFFFFFFFFF             // to restore all threads active
s_or_saveexec_b64 vcc, s[54:55]                    // all threads active
s_nop 3                                            // wait for exec mask
s_branch label_0106                                // done

/******************************************/
/* shift d0 shift=12 glvwblk=0            */
/******************************************/
label_0087:
v_and_b32 v6, 63, v[vgprSerial]                    // permute register between threads
v_lshlrev_b32 v6, 0x2, v6                          // permute register between threads
v_lshrrev_b32 v0, 5, v[vgprSerial]                 // v0 = v[vgprSerial] / 32
v_and_b32 v7, 1, v0                                // v7 = v0 % 2
v_accvgpr_read_b32 v8, acc0                        // 
v_accvgpr_read_b32 v12, acc32                      // 
v_accvgpr_read_b32 v16, acc64                      // 
v_accvgpr_read_b32 v20, acc96                      // 
v_accvgpr_read_b32 v24, acc128                     // 
v_accvgpr_read_b32 v28, acc160                     // 
v_accvgpr_read_b32 v32, acc192                     // 
v_accvgpr_read_b32 v36, acc224                     // 
v_accvgpr_read_b32 v9, acc1                        // 
v_accvgpr_read_b32 v13, acc33                      // 
v_accvgpr_read_b32 v17, acc65                      // 
v_accvgpr_read_b32 v21, acc97                      // 
v_accvgpr_read_b32 v25, acc129                     // 
v_accvgpr_read_b32 v29, acc161                     // 
v_accvgpr_read_b32 v33, acc193                     // 
v_accvgpr_read_b32 v37, acc225                     // 
v_accvgpr_read_b32 v10, acc2                       // 
v_accvgpr_read_b32 v14, acc34                      // 
v_accvgpr_read_b32 v18, acc66                      // 
v_accvgpr_read_b32 v22, acc98                      // 
v_accvgpr_read_b32 v26, acc130                     // 
v_accvgpr_read_b32 v30, acc162                     // 
v_accvgpr_read_b32 v34, acc194                     // 
v_accvgpr_read_b32 v38, acc226                     // 
v_accvgpr_read_b32 v11, acc3                       // 
v_accvgpr_read_b32 v15, acc35                      // 
v_accvgpr_read_b32 v19, acc67                      // 
v_accvgpr_read_b32 v23, acc99                      // 
v_accvgpr_read_b32 v27, acc131                     // 
v_accvgpr_read_b32 v31, acc163                     // 
v_accvgpr_read_b32 v35, acc195                     // 
v_accvgpr_read_b32 v39, acc227                     // 
s_nop 1                                            // v_accvgpr read vgpr after write vgpr: 2 wait states
ds_bpermute_b32 v8, v6, v8, offset:128             // permute edge values
ds_bpermute_b32 v12, v6, v12, offset:128           // permute edge values
ds_bpermute_b32 v16, v6, v16, offset:128           // permute edge values
	;; [unrolled: 1-line block ×7, first 2 shown]
ds_bpermute_b32 v9, v6, v9, offset:128             // permute edge values
ds_bpermute_b32 v13, v6, v13, offset:128           // permute edge values
ds_bpermute_b32 v17, v6, v17, offset:128           // permute edge values
	;; [unrolled: 1-line block ×23, first 2 shown]
s_waitcnt lgkmcnt(0)                               // wait for swizzle operation
s_mov_b32 s54, 0                                   // which thread need to shfit in this block
_v_cmpx_eq_u32 s[54:55], v7, s54                   // is thread in edge glvw region
s_nop 3                                            // wait for exec mask
v_accvgpr_write_b32 acc0, v8                       // 
v_accvgpr_write_b32 acc32, v12                     // 
v_accvgpr_write_b32 acc64, v16                     // 
v_accvgpr_write_b32 acc96, v20                     // 
v_accvgpr_write_b32 acc128, v24                    // 
v_accvgpr_write_b32 acc160, v28                    // 
v_accvgpr_write_b32 acc192, v32                    // 
v_accvgpr_write_b32 acc224, v36                    // 
v_accvgpr_write_b32 acc1, v9                       // 
v_accvgpr_write_b32 acc33, v13                     // 
v_accvgpr_write_b32 acc65, v17                     // 
v_accvgpr_write_b32 acc97, v21                     // 
v_accvgpr_write_b32 acc129, v25                    // 
v_accvgpr_write_b32 acc161, v29                    // 
v_accvgpr_write_b32 acc193, v33                    // 
v_accvgpr_write_b32 acc225, v37                    // 
v_accvgpr_write_b32 acc2, v10                      // 
v_accvgpr_write_b32 acc34, v14                     // 
v_accvgpr_write_b32 acc66, v18                     // 
v_accvgpr_write_b32 acc98, v22                     // 
v_accvgpr_write_b32 acc130, v26                    // 
v_accvgpr_write_b32 acc162, v30                    // 
v_accvgpr_write_b32 acc194, v34                    // 
v_accvgpr_write_b32 acc226, v38                    // 
v_accvgpr_write_b32 acc3, v11                      // 
v_accvgpr_write_b32 acc35, v15                     // 
v_accvgpr_write_b32 acc67, v19                     // 
v_accvgpr_write_b32 acc99, v23                     // 
v_accvgpr_write_b32 acc131, v27                    // 
v_accvgpr_write_b32 acc163, v31                    // 
v_accvgpr_write_b32 acc195, v35                    // 
v_accvgpr_write_b32 acc227, v39                    // 
s_mov_b64 s[54:55], 0xFFFFFFFFFFFFFFFF             // to restore all threads active
s_or_saveexec_b64 vcc, s[54:55]                    // all threads active
s_nop 3                                            // wait for exec mask
v_accvgpr_read_b32 v8, acc4                        // 
v_accvgpr_read_b32 v12, acc36                      // 
v_accvgpr_read_b32 v16, acc68                      // 
v_accvgpr_read_b32 v20, acc100                     // 
v_accvgpr_read_b32 v24, acc132                     // 
v_accvgpr_read_b32 v28, acc164                     // 
v_accvgpr_read_b32 v32, acc196                     // 
v_accvgpr_read_b32 v36, acc228                     // 
v_accvgpr_read_b32 v9, acc5                        // 
v_accvgpr_read_b32 v13, acc37                      // 
v_accvgpr_read_b32 v17, acc69                      // 
v_accvgpr_read_b32 v21, acc101                     // 
v_accvgpr_read_b32 v25, acc133                     // 
v_accvgpr_read_b32 v29, acc165                     // 
v_accvgpr_read_b32 v33, acc197                     // 
v_accvgpr_read_b32 v37, acc229                     // 
v_accvgpr_read_b32 v10, acc6                       // 
v_accvgpr_read_b32 v14, acc38                      // 
v_accvgpr_read_b32 v18, acc70                      // 
v_accvgpr_read_b32 v22, acc102                     // 
v_accvgpr_read_b32 v26, acc134                     // 
v_accvgpr_read_b32 v30, acc166                     // 
v_accvgpr_read_b32 v34, acc198                     // 
v_accvgpr_read_b32 v38, acc230                     // 
v_accvgpr_read_b32 v11, acc7                       // 
v_accvgpr_read_b32 v15, acc39                      // 
v_accvgpr_read_b32 v19, acc71                      // 
v_accvgpr_read_b32 v23, acc103                     // 
v_accvgpr_read_b32 v27, acc135                     // 
v_accvgpr_read_b32 v31, acc167                     // 
v_accvgpr_read_b32 v35, acc199                     // 
v_accvgpr_read_b32 v39, acc231                     // 
s_nop 1                                            // v_accvgpr read vgpr after write vgpr: 2 wait states
ds_bpermute_b32 v8, v6, v8, offset:128             // permute edge values
ds_bpermute_b32 v12, v6, v12, offset:128           // permute edge values
ds_bpermute_b32 v16, v6, v16, offset:128           // permute edge values
	;; [unrolled: 1-line block ×7, first 2 shown]
ds_bpermute_b32 v9, v6, v9, offset:128             // permute edge values
ds_bpermute_b32 v13, v6, v13, offset:128           // permute edge values
ds_bpermute_b32 v17, v6, v17, offset:128           // permute edge values
ds_bpermute_b32 v21, v6, v21, offset:128           // permute edge values
ds_bpermute_b32 v25, v6, v25, offset:128           // permute edge values
ds_bpermute_b32 v29, v6, v29, offset:128           // permute edge values
ds_bpermute_b32 v33, v6, v33, offset:128           // permute edge values
ds_bpermute_b32 v37, v6, v37, offset:128           // permute edge values
ds_bpermute_b32 v10, v6, v10, offset:128           // permute edge values
ds_bpermute_b32 v14, v6, v14, offset:128           // permute edge values
ds_bpermute_b32 v18, v6, v18, offset:128           // permute edge values
ds_bpermute_b32 v22, v6, v22, offset:128           // permute edge values
ds_bpermute_b32 v26, v6, v26, offset:128           // permute edge values
ds_bpermute_b32 v30, v6, v30, offset:128           // permute edge values
ds_bpermute_b32 v34, v6, v34, offset:128           // permute edge values
ds_bpermute_b32 v38, v6, v38, offset:128           // permute edge values
ds_bpermute_b32 v11, v6, v11, offset:128           // permute edge values
ds_bpermute_b32 v15, v6, v15, offset:128           // permute edge values
ds_bpermute_b32 v19, v6, v19, offset:128           // permute edge values
ds_bpermute_b32 v23, v6, v23, offset:128           // permute edge values
ds_bpermute_b32 v27, v6, v27, offset:128           // permute edge values
ds_bpermute_b32 v31, v6, v31, offset:128           // permute edge values
ds_bpermute_b32 v35, v6, v35, offset:128           // permute edge values
ds_bpermute_b32 v39, v6, v39, offset:128           // permute edge values
s_waitcnt lgkmcnt(0)                               // wait for swizzle operation
s_mov_b32 s54, 1                                   // which thread need to shfit in this block
_v_cmpx_eq_u32 s[54:55], v7, s54                   // is thread in edge glvw region
s_nop 3                                            // wait for exec mask
v_accvgpr_write_b32 acc0, v8                       // 
v_accvgpr_write_b32 acc32, v12                     // 
v_accvgpr_write_b32 acc64, v16                     // 
v_accvgpr_write_b32 acc96, v20                     // 
v_accvgpr_write_b32 acc128, v24                    // 
v_accvgpr_write_b32 acc160, v28                    // 
v_accvgpr_write_b32 acc192, v32                    // 
v_accvgpr_write_b32 acc224, v36                    // 
v_accvgpr_write_b32 acc1, v9                       // 
v_accvgpr_write_b32 acc33, v13                     // 
v_accvgpr_write_b32 acc65, v17                     // 
v_accvgpr_write_b32 acc97, v21                     // 
v_accvgpr_write_b32 acc129, v25                    // 
v_accvgpr_write_b32 acc161, v29                    // 
v_accvgpr_write_b32 acc193, v33                    // 
v_accvgpr_write_b32 acc225, v37                    // 
v_accvgpr_write_b32 acc2, v10                      // 
v_accvgpr_write_b32 acc34, v14                     // 
v_accvgpr_write_b32 acc66, v18                     // 
v_accvgpr_write_b32 acc98, v22                     // 
v_accvgpr_write_b32 acc130, v26                    // 
v_accvgpr_write_b32 acc162, v30                    // 
v_accvgpr_write_b32 acc194, v34                    // 
v_accvgpr_write_b32 acc226, v38                    // 
v_accvgpr_write_b32 acc3, v11                      // 
v_accvgpr_write_b32 acc35, v15                     // 
v_accvgpr_write_b32 acc67, v19                     // 
v_accvgpr_write_b32 acc99, v23                     // 
v_accvgpr_write_b32 acc131, v27                    // 
v_accvgpr_write_b32 acc163, v31                    // 
v_accvgpr_write_b32 acc195, v35                    // 
v_accvgpr_write_b32 acc227, v39                    // 
s_mov_b64 s[54:55], 0xFFFFFFFFFFFFFFFF             // to restore all threads active
s_or_saveexec_b64 vcc, s[54:55]                    // all threads active
s_nop 3                                            // wait for exec mask
v_accvgpr_read_b32 v8, acc4                        // 
v_accvgpr_read_b32 v12, acc36                      // 
v_accvgpr_read_b32 v16, acc68                      // 
v_accvgpr_read_b32 v20, acc100                     // 
v_accvgpr_read_b32 v24, acc132                     // 
v_accvgpr_read_b32 v28, acc164                     // 
v_accvgpr_read_b32 v32, acc196                     // 
v_accvgpr_read_b32 v36, acc228                     // 
v_accvgpr_read_b32 v9, acc5                        // 
v_accvgpr_read_b32 v13, acc37                      // 
v_accvgpr_read_b32 v17, acc69                      // 
v_accvgpr_read_b32 v21, acc101                     // 
v_accvgpr_read_b32 v25, acc133                     // 
v_accvgpr_read_b32 v29, acc165                     // 
v_accvgpr_read_b32 v33, acc197                     // 
v_accvgpr_read_b32 v37, acc229                     // 
v_accvgpr_read_b32 v10, acc6                       // 
v_accvgpr_read_b32 v14, acc38                      // 
v_accvgpr_read_b32 v18, acc70                      // 
v_accvgpr_read_b32 v22, acc102                     // 
v_accvgpr_read_b32 v26, acc134                     // 
v_accvgpr_read_b32 v30, acc166                     // 
v_accvgpr_read_b32 v34, acc198                     // 
v_accvgpr_read_b32 v38, acc230                     // 
v_accvgpr_read_b32 v11, acc7                       // 
v_accvgpr_read_b32 v15, acc39                      // 
v_accvgpr_read_b32 v19, acc71                      // 
v_accvgpr_read_b32 v23, acc103                     // 
v_accvgpr_read_b32 v27, acc135                     // 
v_accvgpr_read_b32 v31, acc167                     // 
v_accvgpr_read_b32 v35, acc199                     // 
v_accvgpr_read_b32 v39, acc231                     // 
s_nop 1                                            // v_accvgpr read vgpr after write vgpr: 2 wait states
ds_bpermute_b32 v8, v6, v8, offset:128             // permute edge values
ds_bpermute_b32 v12, v6, v12, offset:128           // permute edge values
ds_bpermute_b32 v16, v6, v16, offset:128           // permute edge values
ds_bpermute_b32 v20, v6, v20, offset:128           // permute edge values
ds_bpermute_b32 v24, v6, v24, offset:128           // permute edge values
ds_bpermute_b32 v28, v6, v28, offset:128           // permute edge values
ds_bpermute_b32 v32, v6, v32, offset:128           // permute edge values
ds_bpermute_b32 v36, v6, v36, offset:128           // permute edge values
ds_bpermute_b32 v9, v6, v9, offset:128             // permute edge values
ds_bpermute_b32 v13, v6, v13, offset:128           // permute edge values
ds_bpermute_b32 v17, v6, v17, offset:128           // permute edge values
	;; [unrolled: 1-line block ×23, first 2 shown]
s_waitcnt lgkmcnt(0)                               // wait for swizzle operation
s_mov_b32 s54, 0                                   // which thread need to shfit in this block
_v_cmpx_eq_u32 s[54:55], v7, s54                   // is thread in edge glvw region
s_nop 3                                            // wait for exec mask
v_accvgpr_write_b32 acc4, v8                       // 
v_accvgpr_write_b32 acc36, v12                     // 
v_accvgpr_write_b32 acc68, v16                     // 
v_accvgpr_write_b32 acc100, v20                    // 
v_accvgpr_write_b32 acc132, v24                    // 
v_accvgpr_write_b32 acc164, v28                    // 
v_accvgpr_write_b32 acc196, v32                    // 
v_accvgpr_write_b32 acc228, v36                    // 
v_accvgpr_write_b32 acc5, v9                       // 
v_accvgpr_write_b32 acc37, v13                     // 
v_accvgpr_write_b32 acc69, v17                     // 
v_accvgpr_write_b32 acc101, v21                    // 
v_accvgpr_write_b32 acc133, v25                    // 
v_accvgpr_write_b32 acc165, v29                    // 
v_accvgpr_write_b32 acc197, v33                    // 
v_accvgpr_write_b32 acc229, v37                    // 
v_accvgpr_write_b32 acc6, v10                      // 
v_accvgpr_write_b32 acc38, v14                     // 
v_accvgpr_write_b32 acc70, v18                     // 
v_accvgpr_write_b32 acc102, v22                    // 
v_accvgpr_write_b32 acc134, v26                    // 
v_accvgpr_write_b32 acc166, v30                    // 
v_accvgpr_write_b32 acc198, v34                    // 
v_accvgpr_write_b32 acc230, v38                    // 
v_accvgpr_write_b32 acc7, v11                      // 
v_accvgpr_write_b32 acc39, v15                     // 
v_accvgpr_write_b32 acc71, v19                     // 
v_accvgpr_write_b32 acc103, v23                    // 
v_accvgpr_write_b32 acc135, v27                    // 
v_accvgpr_write_b32 acc167, v31                    // 
v_accvgpr_write_b32 acc199, v35                    // 
v_accvgpr_write_b32 acc231, v39                    // 
s_mov_b64 s[54:55], 0xFFFFFFFFFFFFFFFF             // to restore all threads active
s_or_saveexec_b64 vcc, s[54:55]                    // all threads active
s_nop 3                                            // wait for exec mask
s_branch label_0106                                // done

/******************************************/
/* shift d0 shift=12 glvwblk=1            */
/******************************************/
label_0088:
v_and_b32 v6, 63, v[vgprSerial]                    // permute register between threads
v_lshlrev_b32 v6, 0x2, v6                          // permute register between threads
v_lshrrev_b32 v0, 5, v[vgprSerial]                 // v0 = v[vgprSerial] / 32
v_and_b32 v7, 1, v0                                // v7 = v0 % 2
v_accvgpr_read_b32 v8, acc8                        // 
v_accvgpr_read_b32 v12, acc40                      // 
v_accvgpr_read_b32 v16, acc72                      // 
v_accvgpr_read_b32 v20, acc104                     // 
v_accvgpr_read_b32 v24, acc136                     // 
v_accvgpr_read_b32 v28, acc168                     // 
v_accvgpr_read_b32 v32, acc200                     // 
v_accvgpr_read_b32 v36, acc232                     // 
v_accvgpr_read_b32 v9, acc9                        // 
v_accvgpr_read_b32 v13, acc41                      // 
v_accvgpr_read_b32 v17, acc73                      // 
v_accvgpr_read_b32 v21, acc105                     // 
v_accvgpr_read_b32 v25, acc137                     // 
v_accvgpr_read_b32 v29, acc169                     // 
v_accvgpr_read_b32 v33, acc201                     // 
v_accvgpr_read_b32 v37, acc233                     // 
v_accvgpr_read_b32 v10, acc10                      // 
v_accvgpr_read_b32 v14, acc42                      // 
v_accvgpr_read_b32 v18, acc74                      // 
v_accvgpr_read_b32 v22, acc106                     // 
v_accvgpr_read_b32 v26, acc138                     // 
v_accvgpr_read_b32 v30, acc170                     // 
v_accvgpr_read_b32 v34, acc202                     // 
v_accvgpr_read_b32 v38, acc234                     // 
v_accvgpr_read_b32 v11, acc11                      // 
v_accvgpr_read_b32 v15, acc43                      // 
v_accvgpr_read_b32 v19, acc75                      // 
v_accvgpr_read_b32 v23, acc107                     // 
v_accvgpr_read_b32 v27, acc139                     // 
v_accvgpr_read_b32 v31, acc171                     // 
v_accvgpr_read_b32 v35, acc203                     // 
v_accvgpr_read_b32 v39, acc235                     // 
s_nop 1                                            // v_accvgpr read vgpr after write vgpr: 2 wait states
ds_bpermute_b32 v8, v6, v8, offset:128             // permute edge values
ds_bpermute_b32 v12, v6, v12, offset:128           // permute edge values
ds_bpermute_b32 v16, v6, v16, offset:128           // permute edge values
	;; [unrolled: 1-line block ×7, first 2 shown]
ds_bpermute_b32 v9, v6, v9, offset:128             // permute edge values
ds_bpermute_b32 v13, v6, v13, offset:128           // permute edge values
ds_bpermute_b32 v17, v6, v17, offset:128           // permute edge values
	;; [unrolled: 1-line block ×23, first 2 shown]
s_waitcnt lgkmcnt(0)                               // wait for swizzle operation
s_mov_b32 s54, 0                                   // which thread need to shfit in this block
_v_cmpx_eq_u32 s[54:55], v7, s54                   // is thread in edge glvw region
s_nop 3                                            // wait for exec mask
v_accvgpr_write_b32 acc8, v8                       // 
v_accvgpr_write_b32 acc40, v12                     // 
v_accvgpr_write_b32 acc72, v16                     // 
v_accvgpr_write_b32 acc104, v20                    // 
v_accvgpr_write_b32 acc136, v24                    // 
v_accvgpr_write_b32 acc168, v28                    // 
v_accvgpr_write_b32 acc200, v32                    // 
v_accvgpr_write_b32 acc232, v36                    // 
v_accvgpr_write_b32 acc9, v9                       // 
v_accvgpr_write_b32 acc41, v13                     // 
v_accvgpr_write_b32 acc73, v17                     // 
v_accvgpr_write_b32 acc105, v21                    // 
v_accvgpr_write_b32 acc137, v25                    // 
v_accvgpr_write_b32 acc169, v29                    // 
v_accvgpr_write_b32 acc201, v33                    // 
v_accvgpr_write_b32 acc233, v37                    // 
v_accvgpr_write_b32 acc10, v10                     // 
v_accvgpr_write_b32 acc42, v14                     // 
v_accvgpr_write_b32 acc74, v18                     // 
v_accvgpr_write_b32 acc106, v22                    // 
v_accvgpr_write_b32 acc138, v26                    // 
v_accvgpr_write_b32 acc170, v30                    // 
v_accvgpr_write_b32 acc202, v34                    // 
v_accvgpr_write_b32 acc234, v38                    // 
v_accvgpr_write_b32 acc11, v11                     // 
v_accvgpr_write_b32 acc43, v15                     // 
v_accvgpr_write_b32 acc75, v19                     // 
v_accvgpr_write_b32 acc107, v23                    // 
v_accvgpr_write_b32 acc139, v27                    // 
v_accvgpr_write_b32 acc171, v31                    // 
v_accvgpr_write_b32 acc203, v35                    // 
v_accvgpr_write_b32 acc235, v39                    // 
s_mov_b64 s[54:55], 0xFFFFFFFFFFFFFFFF             // to restore all threads active
s_or_saveexec_b64 vcc, s[54:55]                    // all threads active
s_nop 3                                            // wait for exec mask
v_accvgpr_read_b32 v8, acc12                       // 
v_accvgpr_read_b32 v12, acc44                      // 
v_accvgpr_read_b32 v16, acc76                      // 
v_accvgpr_read_b32 v20, acc108                     // 
v_accvgpr_read_b32 v24, acc140                     // 
v_accvgpr_read_b32 v28, acc172                     // 
v_accvgpr_read_b32 v32, acc204                     // 
v_accvgpr_read_b32 v36, acc236                     // 
v_accvgpr_read_b32 v9, acc13                       // 
v_accvgpr_read_b32 v13, acc45                      // 
v_accvgpr_read_b32 v17, acc77                      // 
v_accvgpr_read_b32 v21, acc109                     // 
v_accvgpr_read_b32 v25, acc141                     // 
v_accvgpr_read_b32 v29, acc173                     // 
v_accvgpr_read_b32 v33, acc205                     // 
v_accvgpr_read_b32 v37, acc237                     // 
v_accvgpr_read_b32 v10, acc14                      // 
v_accvgpr_read_b32 v14, acc46                      // 
v_accvgpr_read_b32 v18, acc78                      // 
v_accvgpr_read_b32 v22, acc110                     // 
v_accvgpr_read_b32 v26, acc142                     // 
v_accvgpr_read_b32 v30, acc174                     // 
v_accvgpr_read_b32 v34, acc206                     // 
v_accvgpr_read_b32 v38, acc238                     // 
v_accvgpr_read_b32 v11, acc15                      // 
v_accvgpr_read_b32 v15, acc47                      // 
v_accvgpr_read_b32 v19, acc79                      // 
v_accvgpr_read_b32 v23, acc111                     // 
v_accvgpr_read_b32 v27, acc143                     // 
v_accvgpr_read_b32 v31, acc175                     // 
v_accvgpr_read_b32 v35, acc207                     // 
v_accvgpr_read_b32 v39, acc239                     // 
s_nop 1                                            // v_accvgpr read vgpr after write vgpr: 2 wait states
ds_bpermute_b32 v8, v6, v8, offset:128             // permute edge values
ds_bpermute_b32 v12, v6, v12, offset:128           // permute edge values
ds_bpermute_b32 v16, v6, v16, offset:128           // permute edge values
	;; [unrolled: 1-line block ×7, first 2 shown]
ds_bpermute_b32 v9, v6, v9, offset:128             // permute edge values
ds_bpermute_b32 v13, v6, v13, offset:128           // permute edge values
ds_bpermute_b32 v17, v6, v17, offset:128           // permute edge values
ds_bpermute_b32 v21, v6, v21, offset:128           // permute edge values
ds_bpermute_b32 v25, v6, v25, offset:128           // permute edge values
ds_bpermute_b32 v29, v6, v29, offset:128           // permute edge values
ds_bpermute_b32 v33, v6, v33, offset:128           // permute edge values
ds_bpermute_b32 v37, v6, v37, offset:128           // permute edge values
ds_bpermute_b32 v10, v6, v10, offset:128           // permute edge values
ds_bpermute_b32 v14, v6, v14, offset:128           // permute edge values
ds_bpermute_b32 v18, v6, v18, offset:128           // permute edge values
ds_bpermute_b32 v22, v6, v22, offset:128           // permute edge values
ds_bpermute_b32 v26, v6, v26, offset:128           // permute edge values
ds_bpermute_b32 v30, v6, v30, offset:128           // permute edge values
ds_bpermute_b32 v34, v6, v34, offset:128           // permute edge values
ds_bpermute_b32 v38, v6, v38, offset:128           // permute edge values
ds_bpermute_b32 v11, v6, v11, offset:128           // permute edge values
ds_bpermute_b32 v15, v6, v15, offset:128           // permute edge values
ds_bpermute_b32 v19, v6, v19, offset:128           // permute edge values
ds_bpermute_b32 v23, v6, v23, offset:128           // permute edge values
ds_bpermute_b32 v27, v6, v27, offset:128           // permute edge values
ds_bpermute_b32 v31, v6, v31, offset:128           // permute edge values
ds_bpermute_b32 v35, v6, v35, offset:128           // permute edge values
ds_bpermute_b32 v39, v6, v39, offset:128           // permute edge values
s_waitcnt lgkmcnt(0)                               // wait for swizzle operation
s_mov_b32 s54, 1                                   // which thread need to shfit in this block
_v_cmpx_eq_u32 s[54:55], v7, s54                   // is thread in edge glvw region
s_nop 3                                            // wait for exec mask
v_accvgpr_write_b32 acc8, v8                       // 
v_accvgpr_write_b32 acc40, v12                     // 
v_accvgpr_write_b32 acc72, v16                     // 
v_accvgpr_write_b32 acc104, v20                    // 
v_accvgpr_write_b32 acc136, v24                    // 
v_accvgpr_write_b32 acc168, v28                    // 
v_accvgpr_write_b32 acc200, v32                    // 
v_accvgpr_write_b32 acc232, v36                    // 
v_accvgpr_write_b32 acc9, v9                       // 
v_accvgpr_write_b32 acc41, v13                     // 
v_accvgpr_write_b32 acc73, v17                     // 
v_accvgpr_write_b32 acc105, v21                    // 
v_accvgpr_write_b32 acc137, v25                    // 
v_accvgpr_write_b32 acc169, v29                    // 
v_accvgpr_write_b32 acc201, v33                    // 
v_accvgpr_write_b32 acc233, v37                    // 
v_accvgpr_write_b32 acc10, v10                     // 
v_accvgpr_write_b32 acc42, v14                     // 
v_accvgpr_write_b32 acc74, v18                     // 
v_accvgpr_write_b32 acc106, v22                    // 
v_accvgpr_write_b32 acc138, v26                    // 
v_accvgpr_write_b32 acc170, v30                    // 
v_accvgpr_write_b32 acc202, v34                    // 
v_accvgpr_write_b32 acc234, v38                    // 
v_accvgpr_write_b32 acc11, v11                     // 
v_accvgpr_write_b32 acc43, v15                     // 
v_accvgpr_write_b32 acc75, v19                     // 
v_accvgpr_write_b32 acc107, v23                    // 
v_accvgpr_write_b32 acc139, v27                    // 
v_accvgpr_write_b32 acc171, v31                    // 
v_accvgpr_write_b32 acc203, v35                    // 
v_accvgpr_write_b32 acc235, v39                    // 
s_mov_b64 s[54:55], 0xFFFFFFFFFFFFFFFF             // to restore all threads active
s_or_saveexec_b64 vcc, s[54:55]                    // all threads active
s_nop 3                                            // wait for exec mask
v_accvgpr_read_b32 v8, acc12                       // 
v_accvgpr_read_b32 v12, acc44                      // 
v_accvgpr_read_b32 v16, acc76                      // 
v_accvgpr_read_b32 v20, acc108                     // 
v_accvgpr_read_b32 v24, acc140                     // 
v_accvgpr_read_b32 v28, acc172                     // 
v_accvgpr_read_b32 v32, acc204                     // 
v_accvgpr_read_b32 v36, acc236                     // 
v_accvgpr_read_b32 v9, acc13                       // 
v_accvgpr_read_b32 v13, acc45                      // 
v_accvgpr_read_b32 v17, acc77                      // 
v_accvgpr_read_b32 v21, acc109                     // 
v_accvgpr_read_b32 v25, acc141                     // 
v_accvgpr_read_b32 v29, acc173                     // 
v_accvgpr_read_b32 v33, acc205                     // 
v_accvgpr_read_b32 v37, acc237                     // 
v_accvgpr_read_b32 v10, acc14                      // 
v_accvgpr_read_b32 v14, acc46                      // 
v_accvgpr_read_b32 v18, acc78                      // 
v_accvgpr_read_b32 v22, acc110                     // 
v_accvgpr_read_b32 v26, acc142                     // 
v_accvgpr_read_b32 v30, acc174                     // 
v_accvgpr_read_b32 v34, acc206                     // 
v_accvgpr_read_b32 v38, acc238                     // 
v_accvgpr_read_b32 v11, acc15                      // 
v_accvgpr_read_b32 v15, acc47                      // 
v_accvgpr_read_b32 v19, acc79                      // 
v_accvgpr_read_b32 v23, acc111                     // 
v_accvgpr_read_b32 v27, acc143                     // 
v_accvgpr_read_b32 v31, acc175                     // 
v_accvgpr_read_b32 v35, acc207                     // 
v_accvgpr_read_b32 v39, acc239                     // 
s_nop 1                                            // v_accvgpr read vgpr after write vgpr: 2 wait states
ds_bpermute_b32 v8, v6, v8, offset:128             // permute edge values
ds_bpermute_b32 v12, v6, v12, offset:128           // permute edge values
ds_bpermute_b32 v16, v6, v16, offset:128           // permute edge values
	;; [unrolled: 1-line block ×7, first 2 shown]
ds_bpermute_b32 v9, v6, v9, offset:128             // permute edge values
ds_bpermute_b32 v13, v6, v13, offset:128           // permute edge values
ds_bpermute_b32 v17, v6, v17, offset:128           // permute edge values
	;; [unrolled: 1-line block ×23, first 2 shown]
s_waitcnt lgkmcnt(0)                               // wait for swizzle operation
s_mov_b32 s54, 0                                   // which thread need to shfit in this block
_v_cmpx_eq_u32 s[54:55], v7, s54                   // is thread in edge glvw region
s_nop 3                                            // wait for exec mask
v_accvgpr_write_b32 acc12, v8                      // 
v_accvgpr_write_b32 acc44, v12                     // 
v_accvgpr_write_b32 acc76, v16                     // 
v_accvgpr_write_b32 acc108, v20                    // 
v_accvgpr_write_b32 acc140, v24                    // 
v_accvgpr_write_b32 acc172, v28                    // 
v_accvgpr_write_b32 acc204, v32                    // 
v_accvgpr_write_b32 acc236, v36                    // 
v_accvgpr_write_b32 acc13, v9                      // 
v_accvgpr_write_b32 acc45, v13                     // 
v_accvgpr_write_b32 acc77, v17                     // 
v_accvgpr_write_b32 acc109, v21                    // 
v_accvgpr_write_b32 acc141, v25                    // 
v_accvgpr_write_b32 acc173, v29                    // 
v_accvgpr_write_b32 acc205, v33                    // 
v_accvgpr_write_b32 acc237, v37                    // 
v_accvgpr_write_b32 acc14, v10                     // 
v_accvgpr_write_b32 acc46, v14                     // 
v_accvgpr_write_b32 acc78, v18                     // 
v_accvgpr_write_b32 acc110, v22                    // 
v_accvgpr_write_b32 acc142, v26                    // 
v_accvgpr_write_b32 acc174, v30                    // 
v_accvgpr_write_b32 acc206, v34                    // 
v_accvgpr_write_b32 acc238, v38                    // 
v_accvgpr_write_b32 acc15, v11                     // 
v_accvgpr_write_b32 acc47, v15                     // 
v_accvgpr_write_b32 acc79, v19                     // 
v_accvgpr_write_b32 acc111, v23                    // 
v_accvgpr_write_b32 acc143, v27                    // 
v_accvgpr_write_b32 acc175, v31                    // 
v_accvgpr_write_b32 acc207, v35                    // 
v_accvgpr_write_b32 acc239, v39                    // 
s_mov_b64 s[54:55], 0xFFFFFFFFFFFFFFFF             // to restore all threads active
s_or_saveexec_b64 vcc, s[54:55]                    // all threads active
s_nop 3                                            // wait for exec mask
s_branch label_0106                                // done

/******************************************/
/* shift d0 shift=12 glvwblk=0            */
/******************************************/
label_0089:
v_and_b32 v6, 63, v[vgprSerial]                    // permute register between threads
v_lshlrev_b32 v6, 0x2, v6                          // permute register between threads
v_lshrrev_b32 v0, 5, v[vgprSerial]                 // v0 = v[vgprSerial] / 32
v_and_b32 v7, 1, v0                                // v7 = v0 % 2
v_accvgpr_read_b32 v8, acc16                       // 
v_accvgpr_read_b32 v12, acc48                      // 
v_accvgpr_read_b32 v16, acc80                      // 
v_accvgpr_read_b32 v20, acc112                     // 
v_accvgpr_read_b32 v24, acc144                     // 
v_accvgpr_read_b32 v28, acc176                     // 
v_accvgpr_read_b32 v32, acc208                     // 
v_accvgpr_read_b32 v36, acc240                     // 
v_accvgpr_read_b32 v9, acc17                       // 
v_accvgpr_read_b32 v13, acc49                      // 
v_accvgpr_read_b32 v17, acc81                      // 
v_accvgpr_read_b32 v21, acc113                     // 
v_accvgpr_read_b32 v25, acc145                     // 
v_accvgpr_read_b32 v29, acc177                     // 
v_accvgpr_read_b32 v33, acc209                     // 
v_accvgpr_read_b32 v37, acc241                     // 
v_accvgpr_read_b32 v10, acc18                      // 
v_accvgpr_read_b32 v14, acc50                      // 
v_accvgpr_read_b32 v18, acc82                      // 
v_accvgpr_read_b32 v22, acc114                     // 
v_accvgpr_read_b32 v26, acc146                     // 
v_accvgpr_read_b32 v30, acc178                     // 
v_accvgpr_read_b32 v34, acc210                     // 
v_accvgpr_read_b32 v38, acc242                     // 
v_accvgpr_read_b32 v11, acc19                      // 
v_accvgpr_read_b32 v15, acc51                      // 
v_accvgpr_read_b32 v19, acc83                      // 
v_accvgpr_read_b32 v23, acc115                     // 
v_accvgpr_read_b32 v27, acc147                     // 
v_accvgpr_read_b32 v31, acc179                     // 
v_accvgpr_read_b32 v35, acc211                     // 
v_accvgpr_read_b32 v39, acc243                     // 
s_nop 1                                            // v_accvgpr read vgpr after write vgpr: 2 wait states
ds_bpermute_b32 v8, v6, v8, offset:128             // permute edge values
ds_bpermute_b32 v12, v6, v12, offset:128           // permute edge values
ds_bpermute_b32 v16, v6, v16, offset:128           // permute edge values
	;; [unrolled: 1-line block ×7, first 2 shown]
ds_bpermute_b32 v9, v6, v9, offset:128             // permute edge values
ds_bpermute_b32 v13, v6, v13, offset:128           // permute edge values
ds_bpermute_b32 v17, v6, v17, offset:128           // permute edge values
	;; [unrolled: 1-line block ×23, first 2 shown]
s_waitcnt lgkmcnt(0)                               // wait for swizzle operation
s_mov_b32 s54, 0                                   // which thread need to shfit in this block
_v_cmpx_eq_u32 s[54:55], v7, s54                   // is thread in edge glvw region
s_nop 3                                            // wait for exec mask
v_accvgpr_write_b32 acc16, v8                      // 
v_accvgpr_write_b32 acc48, v12                     // 
v_accvgpr_write_b32 acc80, v16                     // 
v_accvgpr_write_b32 acc112, v20                    // 
v_accvgpr_write_b32 acc144, v24                    // 
v_accvgpr_write_b32 acc176, v28                    // 
v_accvgpr_write_b32 acc208, v32                    // 
v_accvgpr_write_b32 acc240, v36                    // 
v_accvgpr_write_b32 acc17, v9                      // 
v_accvgpr_write_b32 acc49, v13                     // 
v_accvgpr_write_b32 acc81, v17                     // 
v_accvgpr_write_b32 acc113, v21                    // 
v_accvgpr_write_b32 acc145, v25                    // 
v_accvgpr_write_b32 acc177, v29                    // 
v_accvgpr_write_b32 acc209, v33                    // 
v_accvgpr_write_b32 acc241, v37                    // 
v_accvgpr_write_b32 acc18, v10                     // 
v_accvgpr_write_b32 acc50, v14                     // 
v_accvgpr_write_b32 acc82, v18                     // 
v_accvgpr_write_b32 acc114, v22                    // 
v_accvgpr_write_b32 acc146, v26                    // 
v_accvgpr_write_b32 acc178, v30                    // 
v_accvgpr_write_b32 acc210, v34                    // 
v_accvgpr_write_b32 acc242, v38                    // 
v_accvgpr_write_b32 acc19, v11                     // 
v_accvgpr_write_b32 acc51, v15                     // 
v_accvgpr_write_b32 acc83, v19                     // 
v_accvgpr_write_b32 acc115, v23                    // 
v_accvgpr_write_b32 acc147, v27                    // 
v_accvgpr_write_b32 acc179, v31                    // 
v_accvgpr_write_b32 acc211, v35                    // 
v_accvgpr_write_b32 acc243, v39                    // 
s_mov_b64 s[54:55], 0xFFFFFFFFFFFFFFFF             // to restore all threads active
s_or_saveexec_b64 vcc, s[54:55]                    // all threads active
s_nop 3                                            // wait for exec mask
v_accvgpr_read_b32 v8, acc20                       // 
v_accvgpr_read_b32 v12, acc52                      // 
v_accvgpr_read_b32 v16, acc84                      // 
v_accvgpr_read_b32 v20, acc116                     // 
v_accvgpr_read_b32 v24, acc148                     // 
v_accvgpr_read_b32 v28, acc180                     // 
v_accvgpr_read_b32 v32, acc212                     // 
v_accvgpr_read_b32 v36, acc244                     // 
v_accvgpr_read_b32 v9, acc21                       // 
v_accvgpr_read_b32 v13, acc53                      // 
v_accvgpr_read_b32 v17, acc85                      // 
v_accvgpr_read_b32 v21, acc117                     // 
v_accvgpr_read_b32 v25, acc149                     // 
v_accvgpr_read_b32 v29, acc181                     // 
v_accvgpr_read_b32 v33, acc213                     // 
v_accvgpr_read_b32 v37, acc245                     // 
v_accvgpr_read_b32 v10, acc22                      // 
v_accvgpr_read_b32 v14, acc54                      // 
v_accvgpr_read_b32 v18, acc86                      // 
v_accvgpr_read_b32 v22, acc118                     // 
v_accvgpr_read_b32 v26, acc150                     // 
v_accvgpr_read_b32 v30, acc182                     // 
v_accvgpr_read_b32 v34, acc214                     // 
v_accvgpr_read_b32 v38, acc246                     // 
v_accvgpr_read_b32 v11, acc23                      // 
v_accvgpr_read_b32 v15, acc55                      // 
v_accvgpr_read_b32 v19, acc87                      // 
v_accvgpr_read_b32 v23, acc119                     // 
v_accvgpr_read_b32 v27, acc151                     // 
v_accvgpr_read_b32 v31, acc183                     // 
v_accvgpr_read_b32 v35, acc215                     // 
v_accvgpr_read_b32 v39, acc247                     // 
s_nop 1                                            // v_accvgpr read vgpr after write vgpr: 2 wait states
ds_bpermute_b32 v8, v6, v8, offset:128             // permute edge values
ds_bpermute_b32 v12, v6, v12, offset:128           // permute edge values
ds_bpermute_b32 v16, v6, v16, offset:128           // permute edge values
	;; [unrolled: 1-line block ×7, first 2 shown]
ds_bpermute_b32 v9, v6, v9, offset:128             // permute edge values
ds_bpermute_b32 v13, v6, v13, offset:128           // permute edge values
ds_bpermute_b32 v17, v6, v17, offset:128           // permute edge values
	;; [unrolled: 1-line block ×23, first 2 shown]
s_waitcnt lgkmcnt(0)                               // wait for swizzle operation
s_mov_b32 s54, 1                                   // which thread need to shfit in this block
_v_cmpx_eq_u32 s[54:55], v7, s54                   // is thread in edge glvw region
s_nop 3                                            // wait for exec mask
v_accvgpr_write_b32 acc16, v8                      // 
v_accvgpr_write_b32 acc48, v12                     // 
v_accvgpr_write_b32 acc80, v16                     // 
v_accvgpr_write_b32 acc112, v20                    // 
v_accvgpr_write_b32 acc144, v24                    // 
v_accvgpr_write_b32 acc176, v28                    // 
v_accvgpr_write_b32 acc208, v32                    // 
v_accvgpr_write_b32 acc240, v36                    // 
v_accvgpr_write_b32 acc17, v9                      // 
v_accvgpr_write_b32 acc49, v13                     // 
v_accvgpr_write_b32 acc81, v17                     // 
v_accvgpr_write_b32 acc113, v21                    // 
v_accvgpr_write_b32 acc145, v25                    // 
v_accvgpr_write_b32 acc177, v29                    // 
v_accvgpr_write_b32 acc209, v33                    // 
v_accvgpr_write_b32 acc241, v37                    // 
v_accvgpr_write_b32 acc18, v10                     // 
v_accvgpr_write_b32 acc50, v14                     // 
v_accvgpr_write_b32 acc82, v18                     // 
v_accvgpr_write_b32 acc114, v22                    // 
v_accvgpr_write_b32 acc146, v26                    // 
v_accvgpr_write_b32 acc178, v30                    // 
v_accvgpr_write_b32 acc210, v34                    // 
v_accvgpr_write_b32 acc242, v38                    // 
v_accvgpr_write_b32 acc19, v11                     // 
v_accvgpr_write_b32 acc51, v15                     // 
v_accvgpr_write_b32 acc83, v19                     // 
v_accvgpr_write_b32 acc115, v23                    // 
v_accvgpr_write_b32 acc147, v27                    // 
v_accvgpr_write_b32 acc179, v31                    // 
v_accvgpr_write_b32 acc211, v35                    // 
v_accvgpr_write_b32 acc243, v39                    // 
s_mov_b64 s[54:55], 0xFFFFFFFFFFFFFFFF             // to restore all threads active
s_or_saveexec_b64 vcc, s[54:55]                    // all threads active
s_nop 3                                            // wait for exec mask
v_accvgpr_read_b32 v8, acc20                       // 
v_accvgpr_read_b32 v12, acc52                      // 
v_accvgpr_read_b32 v16, acc84                      // 
v_accvgpr_read_b32 v20, acc116                     // 
v_accvgpr_read_b32 v24, acc148                     // 
v_accvgpr_read_b32 v28, acc180                     // 
v_accvgpr_read_b32 v32, acc212                     // 
v_accvgpr_read_b32 v36, acc244                     // 
v_accvgpr_read_b32 v9, acc21                       // 
v_accvgpr_read_b32 v13, acc53                      // 
v_accvgpr_read_b32 v17, acc85                      // 
v_accvgpr_read_b32 v21, acc117                     // 
v_accvgpr_read_b32 v25, acc149                     // 
v_accvgpr_read_b32 v29, acc181                     // 
v_accvgpr_read_b32 v33, acc213                     // 
v_accvgpr_read_b32 v37, acc245                     // 
v_accvgpr_read_b32 v10, acc22                      // 
v_accvgpr_read_b32 v14, acc54                      // 
v_accvgpr_read_b32 v18, acc86                      // 
v_accvgpr_read_b32 v22, acc118                     // 
v_accvgpr_read_b32 v26, acc150                     // 
v_accvgpr_read_b32 v30, acc182                     // 
v_accvgpr_read_b32 v34, acc214                     // 
v_accvgpr_read_b32 v38, acc246                     // 
v_accvgpr_read_b32 v11, acc23                      // 
v_accvgpr_read_b32 v15, acc55                      // 
v_accvgpr_read_b32 v19, acc87                      // 
v_accvgpr_read_b32 v23, acc119                     // 
v_accvgpr_read_b32 v27, acc151                     // 
v_accvgpr_read_b32 v31, acc183                     // 
v_accvgpr_read_b32 v35, acc215                     // 
v_accvgpr_read_b32 v39, acc247                     // 
s_nop 1                                            // v_accvgpr read vgpr after write vgpr: 2 wait states
ds_bpermute_b32 v8, v6, v8, offset:128             // permute edge values
ds_bpermute_b32 v12, v6, v12, offset:128           // permute edge values
ds_bpermute_b32 v16, v6, v16, offset:128           // permute edge values
	;; [unrolled: 1-line block ×7, first 2 shown]
ds_bpermute_b32 v9, v6, v9, offset:128             // permute edge values
ds_bpermute_b32 v13, v6, v13, offset:128           // permute edge values
ds_bpermute_b32 v17, v6, v17, offset:128           // permute edge values
	;; [unrolled: 1-line block ×23, first 2 shown]
s_waitcnt lgkmcnt(0)                               // wait for swizzle operation
s_mov_b32 s54, 0                                   // which thread need to shfit in this block
_v_cmpx_eq_u32 s[54:55], v7, s54                   // is thread in edge glvw region
s_nop 3                                            // wait for exec mask
v_accvgpr_write_b32 acc20, v8                      // 
v_accvgpr_write_b32 acc52, v12                     // 
v_accvgpr_write_b32 acc84, v16                     // 
v_accvgpr_write_b32 acc116, v20                    // 
v_accvgpr_write_b32 acc148, v24                    // 
v_accvgpr_write_b32 acc180, v28                    // 
v_accvgpr_write_b32 acc212, v32                    // 
v_accvgpr_write_b32 acc244, v36                    // 
v_accvgpr_write_b32 acc21, v9                      // 
v_accvgpr_write_b32 acc53, v13                     // 
v_accvgpr_write_b32 acc85, v17                     // 
v_accvgpr_write_b32 acc117, v21                    // 
v_accvgpr_write_b32 acc149, v25                    // 
v_accvgpr_write_b32 acc181, v29                    // 
v_accvgpr_write_b32 acc213, v33                    // 
v_accvgpr_write_b32 acc245, v37                    // 
v_accvgpr_write_b32 acc22, v10                     // 
v_accvgpr_write_b32 acc54, v14                     // 
v_accvgpr_write_b32 acc86, v18                     // 
v_accvgpr_write_b32 acc118, v22                    // 
v_accvgpr_write_b32 acc150, v26                    // 
v_accvgpr_write_b32 acc182, v30                    // 
v_accvgpr_write_b32 acc214, v34                    // 
v_accvgpr_write_b32 acc246, v38                    // 
v_accvgpr_write_b32 acc23, v11                     // 
v_accvgpr_write_b32 acc55, v15                     // 
v_accvgpr_write_b32 acc87, v19                     // 
v_accvgpr_write_b32 acc119, v23                    // 
v_accvgpr_write_b32 acc151, v27                    // 
v_accvgpr_write_b32 acc183, v31                    // 
v_accvgpr_write_b32 acc215, v35                    // 
v_accvgpr_write_b32 acc247, v39                    // 
s_mov_b64 s[54:55], 0xFFFFFFFFFFFFFFFF             // to restore all threads active
s_or_saveexec_b64 vcc, s[54:55]                    // all threads active
s_nop 3                                            // wait for exec mask
s_branch label_0106                                // done

/******************************************/
/* shift d0 shift=12 glvwblk=1            */
/******************************************/
label_0090:
v_and_b32 v6, 63, v[vgprSerial]                    // permute register between threads
v_lshlrev_b32 v6, 0x2, v6                          // permute register between threads
v_lshrrev_b32 v0, 5, v[vgprSerial]                 // v0 = v[vgprSerial] / 32
v_and_b32 v7, 1, v0                                // v7 = v0 % 2
v_accvgpr_read_b32 v8, acc24                       // 
v_accvgpr_read_b32 v12, acc56                      // 
v_accvgpr_read_b32 v16, acc88                      // 
v_accvgpr_read_b32 v20, acc120                     // 
v_accvgpr_read_b32 v24, acc152                     // 
v_accvgpr_read_b32 v28, acc184                     // 
v_accvgpr_read_b32 v32, acc216                     // 
v_accvgpr_read_b32 v36, acc248                     // 
v_accvgpr_read_b32 v9, acc25                       // 
v_accvgpr_read_b32 v13, acc57                      // 
v_accvgpr_read_b32 v17, acc89                      // 
v_accvgpr_read_b32 v21, acc121                     // 
v_accvgpr_read_b32 v25, acc153                     // 
v_accvgpr_read_b32 v29, acc185                     // 
v_accvgpr_read_b32 v33, acc217                     // 
v_accvgpr_read_b32 v37, acc249                     // 
v_accvgpr_read_b32 v10, acc26                      // 
v_accvgpr_read_b32 v14, acc58                      // 
v_accvgpr_read_b32 v18, acc90                      // 
v_accvgpr_read_b32 v22, acc122                     // 
v_accvgpr_read_b32 v26, acc154                     // 
v_accvgpr_read_b32 v30, acc186                     // 
v_accvgpr_read_b32 v34, acc218                     // 
v_accvgpr_read_b32 v38, acc250                     // 
v_accvgpr_read_b32 v11, acc27                      // 
v_accvgpr_read_b32 v15, acc59                      // 
v_accvgpr_read_b32 v19, acc91                      // 
v_accvgpr_read_b32 v23, acc123                     // 
v_accvgpr_read_b32 v27, acc155                     // 
v_accvgpr_read_b32 v31, acc187                     // 
v_accvgpr_read_b32 v35, acc219                     // 
v_accvgpr_read_b32 v39, acc251                     // 
s_nop 1                                            // v_accvgpr read vgpr after write vgpr: 2 wait states
ds_bpermute_b32 v8, v6, v8, offset:128             // permute edge values
ds_bpermute_b32 v12, v6, v12, offset:128           // permute edge values
ds_bpermute_b32 v16, v6, v16, offset:128           // permute edge values
	;; [unrolled: 1-line block ×7, first 2 shown]
ds_bpermute_b32 v9, v6, v9, offset:128             // permute edge values
ds_bpermute_b32 v13, v6, v13, offset:128           // permute edge values
ds_bpermute_b32 v17, v6, v17, offset:128           // permute edge values
	;; [unrolled: 1-line block ×23, first 2 shown]
s_waitcnt lgkmcnt(0)                               // wait for swizzle operation
s_mov_b32 s54, 0                                   // which thread need to shfit in this block
_v_cmpx_eq_u32 s[54:55], v7, s54                   // is thread in edge glvw region
s_nop 3                                            // wait for exec mask
v_accvgpr_write_b32 acc24, v8                      // 
v_accvgpr_write_b32 acc56, v12                     // 
v_accvgpr_write_b32 acc88, v16                     // 
v_accvgpr_write_b32 acc120, v20                    // 
v_accvgpr_write_b32 acc152, v24                    // 
v_accvgpr_write_b32 acc184, v28                    // 
v_accvgpr_write_b32 acc216, v32                    // 
v_accvgpr_write_b32 acc248, v36                    // 
v_accvgpr_write_b32 acc25, v9                      // 
v_accvgpr_write_b32 acc57, v13                     // 
v_accvgpr_write_b32 acc89, v17                     // 
v_accvgpr_write_b32 acc121, v21                    // 
v_accvgpr_write_b32 acc153, v25                    // 
v_accvgpr_write_b32 acc185, v29                    // 
v_accvgpr_write_b32 acc217, v33                    // 
v_accvgpr_write_b32 acc249, v37                    // 
v_accvgpr_write_b32 acc26, v10                     // 
v_accvgpr_write_b32 acc58, v14                     // 
v_accvgpr_write_b32 acc90, v18                     // 
v_accvgpr_write_b32 acc122, v22                    // 
v_accvgpr_write_b32 acc154, v26                    // 
v_accvgpr_write_b32 acc186, v30                    // 
v_accvgpr_write_b32 acc218, v34                    // 
v_accvgpr_write_b32 acc250, v38                    // 
v_accvgpr_write_b32 acc27, v11                     // 
v_accvgpr_write_b32 acc59, v15                     // 
v_accvgpr_write_b32 acc91, v19                     // 
v_accvgpr_write_b32 acc123, v23                    // 
v_accvgpr_write_b32 acc155, v27                    // 
v_accvgpr_write_b32 acc187, v31                    // 
v_accvgpr_write_b32 acc219, v35                    // 
v_accvgpr_write_b32 acc251, v39                    // 
s_mov_b64 s[54:55], 0xFFFFFFFFFFFFFFFF             // to restore all threads active
s_or_saveexec_b64 vcc, s[54:55]                    // all threads active
s_nop 3                                            // wait for exec mask
v_accvgpr_read_b32 v8, acc28                       // 
v_accvgpr_read_b32 v12, acc60                      // 
v_accvgpr_read_b32 v16, acc92                      // 
v_accvgpr_read_b32 v20, acc124                     // 
v_accvgpr_read_b32 v24, acc156                     // 
v_accvgpr_read_b32 v28, acc188                     // 
v_accvgpr_read_b32 v32, acc220                     // 
v_accvgpr_read_b32 v36, acc252                     // 
v_accvgpr_read_b32 v9, acc29                       // 
v_accvgpr_read_b32 v13, acc61                      // 
v_accvgpr_read_b32 v17, acc93                      // 
v_accvgpr_read_b32 v21, acc125                     // 
v_accvgpr_read_b32 v25, acc157                     // 
v_accvgpr_read_b32 v29, acc189                     // 
v_accvgpr_read_b32 v33, acc221                     // 
v_accvgpr_read_b32 v37, acc253                     // 
v_accvgpr_read_b32 v10, acc30                      // 
v_accvgpr_read_b32 v14, acc62                      // 
v_accvgpr_read_b32 v18, acc94                      // 
v_accvgpr_read_b32 v22, acc126                     // 
v_accvgpr_read_b32 v26, acc158                     // 
v_accvgpr_read_b32 v30, acc190                     // 
v_accvgpr_read_b32 v34, acc222                     // 
v_accvgpr_read_b32 v38, acc254                     // 
v_accvgpr_read_b32 v11, acc31                      // 
v_accvgpr_read_b32 v15, acc63                      // 
v_accvgpr_read_b32 v19, acc95                      // 
v_accvgpr_read_b32 v23, acc127                     // 
v_accvgpr_read_b32 v27, acc159                     // 
v_accvgpr_read_b32 v31, acc191                     // 
v_accvgpr_read_b32 v35, acc223                     // 
v_accvgpr_read_b32 v39, acc255                     // 
s_nop 1                                            // v_accvgpr read vgpr after write vgpr: 2 wait states
ds_bpermute_b32 v8, v6, v8, offset:128             // permute edge values
ds_bpermute_b32 v12, v6, v12, offset:128           // permute edge values
ds_bpermute_b32 v16, v6, v16, offset:128           // permute edge values
	;; [unrolled: 1-line block ×7, first 2 shown]
ds_bpermute_b32 v9, v6, v9, offset:128             // permute edge values
ds_bpermute_b32 v13, v6, v13, offset:128           // permute edge values
ds_bpermute_b32 v17, v6, v17, offset:128           // permute edge values
	;; [unrolled: 1-line block ×23, first 2 shown]
s_waitcnt lgkmcnt(0)                               // wait for swizzle operation
s_mov_b32 s54, 1                                   // which thread need to shfit in this block
_v_cmpx_eq_u32 s[54:55], v7, s54                   // is thread in edge glvw region
s_nop 3                                            // wait for exec mask
v_accvgpr_write_b32 acc24, v8                      // 
v_accvgpr_write_b32 acc56, v12                     // 
v_accvgpr_write_b32 acc88, v16                     // 
v_accvgpr_write_b32 acc120, v20                    // 
v_accvgpr_write_b32 acc152, v24                    // 
v_accvgpr_write_b32 acc184, v28                    // 
v_accvgpr_write_b32 acc216, v32                    // 
v_accvgpr_write_b32 acc248, v36                    // 
v_accvgpr_write_b32 acc25, v9                      // 
v_accvgpr_write_b32 acc57, v13                     // 
v_accvgpr_write_b32 acc89, v17                     // 
v_accvgpr_write_b32 acc121, v21                    // 
v_accvgpr_write_b32 acc153, v25                    // 
v_accvgpr_write_b32 acc185, v29                    // 
v_accvgpr_write_b32 acc217, v33                    // 
v_accvgpr_write_b32 acc249, v37                    // 
v_accvgpr_write_b32 acc26, v10                     // 
v_accvgpr_write_b32 acc58, v14                     // 
v_accvgpr_write_b32 acc90, v18                     // 
v_accvgpr_write_b32 acc122, v22                    // 
v_accvgpr_write_b32 acc154, v26                    // 
v_accvgpr_write_b32 acc186, v30                    // 
v_accvgpr_write_b32 acc218, v34                    // 
v_accvgpr_write_b32 acc250, v38                    // 
v_accvgpr_write_b32 acc27, v11                     // 
v_accvgpr_write_b32 acc59, v15                     // 
v_accvgpr_write_b32 acc91, v19                     // 
v_accvgpr_write_b32 acc123, v23                    // 
v_accvgpr_write_b32 acc155, v27                    // 
v_accvgpr_write_b32 acc187, v31                    // 
v_accvgpr_write_b32 acc219, v35                    // 
v_accvgpr_write_b32 acc251, v39                    // 
s_mov_b64 s[54:55], 0xFFFFFFFFFFFFFFFF             // to restore all threads active
s_or_saveexec_b64 vcc, s[54:55]                    // all threads active
s_nop 3                                            // wait for exec mask
v_accvgpr_read_b32 v8, acc28                       // 
v_accvgpr_read_b32 v12, acc60                      // 
v_accvgpr_read_b32 v16, acc92                      // 
v_accvgpr_read_b32 v20, acc124                     // 
v_accvgpr_read_b32 v24, acc156                     // 
v_accvgpr_read_b32 v28, acc188                     // 
v_accvgpr_read_b32 v32, acc220                     // 
v_accvgpr_read_b32 v36, acc252                     // 
v_accvgpr_read_b32 v9, acc29                       // 
v_accvgpr_read_b32 v13, acc61                      // 
v_accvgpr_read_b32 v17, acc93                      // 
v_accvgpr_read_b32 v21, acc125                     // 
v_accvgpr_read_b32 v25, acc157                     // 
v_accvgpr_read_b32 v29, acc189                     // 
v_accvgpr_read_b32 v33, acc221                     // 
v_accvgpr_read_b32 v37, acc253                     // 
v_accvgpr_read_b32 v10, acc30                      // 
v_accvgpr_read_b32 v14, acc62                      // 
v_accvgpr_read_b32 v18, acc94                      // 
v_accvgpr_read_b32 v22, acc126                     // 
v_accvgpr_read_b32 v26, acc158                     // 
v_accvgpr_read_b32 v30, acc190                     // 
v_accvgpr_read_b32 v34, acc222                     // 
v_accvgpr_read_b32 v38, acc254                     // 
v_accvgpr_read_b32 v11, acc31                      // 
v_accvgpr_read_b32 v15, acc63                      // 
v_accvgpr_read_b32 v19, acc95                      // 
v_accvgpr_read_b32 v23, acc127                     // 
v_accvgpr_read_b32 v27, acc159                     // 
v_accvgpr_read_b32 v31, acc191                     // 
v_accvgpr_read_b32 v35, acc223                     // 
v_accvgpr_read_b32 v39, acc255                     // 
s_nop 1                                            // v_accvgpr read vgpr after write vgpr: 2 wait states
ds_bpermute_b32 v8, v6, v8, offset:128             // permute edge values
ds_bpermute_b32 v12, v6, v12, offset:128           // permute edge values
ds_bpermute_b32 v16, v6, v16, offset:128           // permute edge values
ds_bpermute_b32 v20, v6, v20, offset:128           // permute edge values
ds_bpermute_b32 v24, v6, v24, offset:128           // permute edge values
ds_bpermute_b32 v28, v6, v28, offset:128           // permute edge values
ds_bpermute_b32 v32, v6, v32, offset:128           // permute edge values
ds_bpermute_b32 v36, v6, v36, offset:128           // permute edge values
ds_bpermute_b32 v9, v6, v9, offset:128             // permute edge values
ds_bpermute_b32 v13, v6, v13, offset:128           // permute edge values
ds_bpermute_b32 v17, v6, v17, offset:128           // permute edge values
	;; [unrolled: 1-line block ×23, first 2 shown]
s_waitcnt lgkmcnt(0)                               // wait for swizzle operation
s_mov_b32 s54, 0                                   // which thread need to shfit in this block
_v_cmpx_eq_u32 s[54:55], v7, s54                   // is thread in edge glvw region
s_nop 3                                            // wait for exec mask
v_accvgpr_write_b32 acc28, v8                      // 
v_accvgpr_write_b32 acc60, v12                     // 
v_accvgpr_write_b32 acc92, v16                     // 
v_accvgpr_write_b32 acc124, v20                    // 
v_accvgpr_write_b32 acc156, v24                    // 
v_accvgpr_write_b32 acc188, v28                    // 
v_accvgpr_write_b32 acc220, v32                    // 
v_accvgpr_write_b32 acc252, v36                    // 
v_accvgpr_write_b32 acc29, v9                      // 
v_accvgpr_write_b32 acc61, v13                     // 
v_accvgpr_write_b32 acc93, v17                     // 
v_accvgpr_write_b32 acc125, v21                    // 
v_accvgpr_write_b32 acc157, v25                    // 
v_accvgpr_write_b32 acc189, v29                    // 
v_accvgpr_write_b32 acc221, v33                    // 
v_accvgpr_write_b32 acc253, v37                    // 
v_accvgpr_write_b32 acc30, v10                     // 
v_accvgpr_write_b32 acc62, v14                     // 
v_accvgpr_write_b32 acc94, v18                     // 
v_accvgpr_write_b32 acc126, v22                    // 
v_accvgpr_write_b32 acc158, v26                    // 
v_accvgpr_write_b32 acc190, v30                    // 
v_accvgpr_write_b32 acc222, v34                    // 
v_accvgpr_write_b32 acc254, v38                    // 
v_accvgpr_write_b32 acc31, v11                     // 
v_accvgpr_write_b32 acc63, v15                     // 
v_accvgpr_write_b32 acc95, v19                     // 
v_accvgpr_write_b32 acc127, v23                    // 
v_accvgpr_write_b32 acc159, v27                    // 
v_accvgpr_write_b32 acc191, v31                    // 
v_accvgpr_write_b32 acc223, v35                    // 
v_accvgpr_write_b32 acc255, v39                    // 
s_mov_b64 s[54:55], 0xFFFFFFFFFFFFFFFF             // to restore all threads active
s_or_saveexec_b64 vcc, s[54:55]                    // all threads active
s_nop 3                                            // wait for exec mask
s_branch label_0106                                // done

/******************************************/
/* shift d0 shift=13 glvwblk=0            */
/******************************************/
label_0092:
v_and_b32 v6, 63, v[vgprSerial]                    // permute register between threads
v_lshlrev_b32 v6, 0x2, v6                          // permute register between threads
v_lshrrev_b32 v0, 5, v[vgprSerial]                 // v0 = v[vgprSerial] / 32
v_and_b32 v7, 1, v0                                // v7 = v0 % 2
v_accvgpr_read_b32 v8, acc3                        // 
v_accvgpr_read_b32 v12, acc35                      // 
v_accvgpr_read_b32 v16, acc67                      // 
v_accvgpr_read_b32 v20, acc99                      // 
v_accvgpr_read_b32 v24, acc131                     // 
v_accvgpr_read_b32 v28, acc163                     // 
v_accvgpr_read_b32 v32, acc195                     // 
v_accvgpr_read_b32 v36, acc227                     // 
v_accvgpr_read_b32 v9, acc0                        // 
v_accvgpr_read_b32 v13, acc32                      // 
v_accvgpr_read_b32 v17, acc64                      // 
v_accvgpr_read_b32 v21, acc96                      // 
v_accvgpr_read_b32 v25, acc128                     // 
v_accvgpr_read_b32 v29, acc160                     // 
v_accvgpr_read_b32 v33, acc192                     // 
v_accvgpr_read_b32 v37, acc224                     // 
v_accvgpr_read_b32 v10, acc1                       // 
v_accvgpr_read_b32 v14, acc33                      // 
v_accvgpr_read_b32 v18, acc65                      // 
v_accvgpr_read_b32 v22, acc97                      // 
v_accvgpr_read_b32 v26, acc129                     // 
v_accvgpr_read_b32 v30, acc161                     // 
v_accvgpr_read_b32 v34, acc193                     // 
v_accvgpr_read_b32 v38, acc225                     // 
v_accvgpr_read_b32 v11, acc2                       // 
v_accvgpr_read_b32 v15, acc34                      // 
v_accvgpr_read_b32 v19, acc66                      // 
v_accvgpr_read_b32 v23, acc98                      // 
v_accvgpr_read_b32 v27, acc130                     // 
v_accvgpr_read_b32 v31, acc162                     // 
v_accvgpr_read_b32 v35, acc194                     // 
v_accvgpr_read_b32 v39, acc226                     // 
s_nop 1                                            // v_accvgpr read vgpr after write vgpr: 2 wait states
ds_bpermute_b32 v9, v6, v9, offset:128             // permute edge values
ds_bpermute_b32 v13, v6, v13, offset:128           // permute edge values
ds_bpermute_b32 v17, v6, v17, offset:128           // permute edge values
	;; [unrolled: 1-line block ×23, first 2 shown]
s_waitcnt lgkmcnt(0)                               // wait for swizzle operation
s_mov_b32 s54, 0                                   // which thread need to shfit in this block
_v_cmpx_eq_u32 s[54:55], v7, s54                   // is thread in edge glvw region
s_nop 3                                            // wait for exec mask
v_accvgpr_write_b32 acc0, v8                       // 
v_accvgpr_write_b32 acc32, v12                     // 
v_accvgpr_write_b32 acc64, v16                     // 
v_accvgpr_write_b32 acc96, v20                     // 
v_accvgpr_write_b32 acc128, v24                    // 
v_accvgpr_write_b32 acc160, v28                    // 
v_accvgpr_write_b32 acc192, v32                    // 
v_accvgpr_write_b32 acc224, v36                    // 
v_accvgpr_write_b32 acc1, v9                       // 
v_accvgpr_write_b32 acc33, v13                     // 
v_accvgpr_write_b32 acc65, v17                     // 
v_accvgpr_write_b32 acc97, v21                     // 
v_accvgpr_write_b32 acc129, v25                    // 
v_accvgpr_write_b32 acc161, v29                    // 
v_accvgpr_write_b32 acc193, v33                    // 
v_accvgpr_write_b32 acc225, v37                    // 
v_accvgpr_write_b32 acc2, v10                      // 
v_accvgpr_write_b32 acc34, v14                     // 
v_accvgpr_write_b32 acc66, v18                     // 
v_accvgpr_write_b32 acc98, v22                     // 
v_accvgpr_write_b32 acc130, v26                    // 
v_accvgpr_write_b32 acc162, v30                    // 
v_accvgpr_write_b32 acc194, v34                    // 
v_accvgpr_write_b32 acc226, v38                    // 
v_accvgpr_write_b32 acc3, v11                      // 
v_accvgpr_write_b32 acc35, v15                     // 
v_accvgpr_write_b32 acc67, v19                     // 
v_accvgpr_write_b32 acc99, v23                     // 
v_accvgpr_write_b32 acc131, v27                    // 
v_accvgpr_write_b32 acc163, v31                    // 
v_accvgpr_write_b32 acc195, v35                    // 
v_accvgpr_write_b32 acc227, v39                    // 
s_mov_b64 s[54:55], 0xFFFFFFFFFFFFFFFF             // to restore all threads active
s_or_saveexec_b64 vcc, s[54:55]                    // all threads active
s_nop 3                                            // wait for exec mask
v_accvgpr_read_b32 v8, acc3                        // 
v_accvgpr_read_b32 v12, acc35                      // 
v_accvgpr_read_b32 v16, acc67                      // 
v_accvgpr_read_b32 v20, acc99                      // 
v_accvgpr_read_b32 v24, acc131                     // 
v_accvgpr_read_b32 v28, acc163                     // 
v_accvgpr_read_b32 v32, acc195                     // 
v_accvgpr_read_b32 v36, acc227                     // 
v_accvgpr_read_b32 v9, acc4                        // 
v_accvgpr_read_b32 v13, acc36                      // 
v_accvgpr_read_b32 v17, acc68                      // 
v_accvgpr_read_b32 v21, acc100                     // 
v_accvgpr_read_b32 v25, acc132                     // 
v_accvgpr_read_b32 v29, acc164                     // 
v_accvgpr_read_b32 v33, acc196                     // 
v_accvgpr_read_b32 v37, acc228                     // 
v_accvgpr_read_b32 v10, acc5                       // 
v_accvgpr_read_b32 v14, acc37                      // 
v_accvgpr_read_b32 v18, acc69                      // 
v_accvgpr_read_b32 v22, acc101                     // 
v_accvgpr_read_b32 v26, acc133                     // 
v_accvgpr_read_b32 v30, acc165                     // 
v_accvgpr_read_b32 v34, acc197                     // 
v_accvgpr_read_b32 v38, acc229                     // 
v_accvgpr_read_b32 v11, acc6                       // 
v_accvgpr_read_b32 v15, acc38                      // 
v_accvgpr_read_b32 v19, acc70                      // 
v_accvgpr_read_b32 v23, acc102                     // 
v_accvgpr_read_b32 v27, acc134                     // 
v_accvgpr_read_b32 v31, acc166                     // 
v_accvgpr_read_b32 v35, acc198                     // 
v_accvgpr_read_b32 v39, acc230                     // 
s_nop 1                                            // v_accvgpr read vgpr after write vgpr: 2 wait states
ds_bpermute_b32 v9, v6, v9, offset:128             // permute edge values
ds_bpermute_b32 v13, v6, v13, offset:128           // permute edge values
ds_bpermute_b32 v17, v6, v17, offset:128           // permute edge values
	;; [unrolled: 1-line block ×23, first 2 shown]
s_waitcnt lgkmcnt(0)                               // wait for swizzle operation
s_mov_b32 s54, 1                                   // which thread need to shfit in this block
_v_cmpx_eq_u32 s[54:55], v7, s54                   // is thread in edge glvw region
s_nop 3                                            // wait for exec mask
v_accvgpr_write_b32 acc0, v8                       // 
v_accvgpr_write_b32 acc32, v12                     // 
v_accvgpr_write_b32 acc64, v16                     // 
v_accvgpr_write_b32 acc96, v20                     // 
v_accvgpr_write_b32 acc128, v24                    // 
v_accvgpr_write_b32 acc160, v28                    // 
v_accvgpr_write_b32 acc192, v32                    // 
v_accvgpr_write_b32 acc224, v36                    // 
v_accvgpr_write_b32 acc1, v9                       // 
v_accvgpr_write_b32 acc33, v13                     // 
v_accvgpr_write_b32 acc65, v17                     // 
v_accvgpr_write_b32 acc97, v21                     // 
v_accvgpr_write_b32 acc129, v25                    // 
v_accvgpr_write_b32 acc161, v29                    // 
v_accvgpr_write_b32 acc193, v33                    // 
v_accvgpr_write_b32 acc225, v37                    // 
v_accvgpr_write_b32 acc2, v10                      // 
v_accvgpr_write_b32 acc34, v14                     // 
v_accvgpr_write_b32 acc66, v18                     // 
v_accvgpr_write_b32 acc98, v22                     // 
v_accvgpr_write_b32 acc130, v26                    // 
v_accvgpr_write_b32 acc162, v30                    // 
v_accvgpr_write_b32 acc194, v34                    // 
v_accvgpr_write_b32 acc226, v38                    // 
v_accvgpr_write_b32 acc3, v11                      // 
v_accvgpr_write_b32 acc35, v15                     // 
v_accvgpr_write_b32 acc67, v19                     // 
v_accvgpr_write_b32 acc99, v23                     // 
v_accvgpr_write_b32 acc131, v27                    // 
v_accvgpr_write_b32 acc163, v31                    // 
v_accvgpr_write_b32 acc195, v35                    // 
v_accvgpr_write_b32 acc227, v39                    // 
s_mov_b64 s[54:55], 0xFFFFFFFFFFFFFFFF             // to restore all threads active
s_or_saveexec_b64 vcc, s[54:55]                    // all threads active
s_nop 3                                            // wait for exec mask
v_accvgpr_read_b32 v8, acc7                        // 
v_accvgpr_read_b32 v12, acc39                      // 
v_accvgpr_read_b32 v16, acc71                      // 
v_accvgpr_read_b32 v20, acc103                     // 
v_accvgpr_read_b32 v24, acc135                     // 
v_accvgpr_read_b32 v28, acc167                     // 
v_accvgpr_read_b32 v32, acc199                     // 
v_accvgpr_read_b32 v36, acc231                     // 
v_accvgpr_read_b32 v9, acc4                        // 
v_accvgpr_read_b32 v13, acc36                      // 
v_accvgpr_read_b32 v17, acc68                      // 
v_accvgpr_read_b32 v21, acc100                     // 
v_accvgpr_read_b32 v25, acc132                     // 
v_accvgpr_read_b32 v29, acc164                     // 
v_accvgpr_read_b32 v33, acc196                     // 
v_accvgpr_read_b32 v37, acc228                     // 
v_accvgpr_read_b32 v10, acc5                       // 
v_accvgpr_read_b32 v14, acc37                      // 
v_accvgpr_read_b32 v18, acc69                      // 
v_accvgpr_read_b32 v22, acc101                     // 
v_accvgpr_read_b32 v26, acc133                     // 
v_accvgpr_read_b32 v30, acc165                     // 
v_accvgpr_read_b32 v34, acc197                     // 
v_accvgpr_read_b32 v38, acc229                     // 
v_accvgpr_read_b32 v11, acc6                       // 
v_accvgpr_read_b32 v15, acc38                      // 
v_accvgpr_read_b32 v19, acc70                      // 
v_accvgpr_read_b32 v23, acc102                     // 
v_accvgpr_read_b32 v27, acc134                     // 
v_accvgpr_read_b32 v31, acc166                     // 
v_accvgpr_read_b32 v35, acc198                     // 
v_accvgpr_read_b32 v39, acc230                     // 
s_nop 1                                            // v_accvgpr read vgpr after write vgpr: 2 wait states
ds_bpermute_b32 v9, v6, v9, offset:128             // permute edge values
ds_bpermute_b32 v13, v6, v13, offset:128           // permute edge values
ds_bpermute_b32 v17, v6, v17, offset:128           // permute edge values
	;; [unrolled: 1-line block ×23, first 2 shown]
s_waitcnt lgkmcnt(0)                               // wait for swizzle operation
s_mov_b32 s54, 0                                   // which thread need to shfit in this block
_v_cmpx_eq_u32 s[54:55], v7, s54                   // is thread in edge glvw region
s_nop 3                                            // wait for exec mask
v_accvgpr_write_b32 acc4, v8                       // 
v_accvgpr_write_b32 acc36, v12                     // 
v_accvgpr_write_b32 acc68, v16                     // 
v_accvgpr_write_b32 acc100, v20                    // 
v_accvgpr_write_b32 acc132, v24                    // 
v_accvgpr_write_b32 acc164, v28                    // 
v_accvgpr_write_b32 acc196, v32                    // 
v_accvgpr_write_b32 acc228, v36                    // 
v_accvgpr_write_b32 acc5, v9                       // 
v_accvgpr_write_b32 acc37, v13                     // 
v_accvgpr_write_b32 acc69, v17                     // 
v_accvgpr_write_b32 acc101, v21                    // 
v_accvgpr_write_b32 acc133, v25                    // 
v_accvgpr_write_b32 acc165, v29                    // 
v_accvgpr_write_b32 acc197, v33                    // 
v_accvgpr_write_b32 acc229, v37                    // 
v_accvgpr_write_b32 acc6, v10                      // 
v_accvgpr_write_b32 acc38, v14                     // 
v_accvgpr_write_b32 acc70, v18                     // 
v_accvgpr_write_b32 acc102, v22                    // 
v_accvgpr_write_b32 acc134, v26                    // 
v_accvgpr_write_b32 acc166, v30                    // 
v_accvgpr_write_b32 acc198, v34                    // 
v_accvgpr_write_b32 acc230, v38                    // 
v_accvgpr_write_b32 acc7, v11                      // 
v_accvgpr_write_b32 acc39, v15                     // 
v_accvgpr_write_b32 acc71, v19                     // 
v_accvgpr_write_b32 acc103, v23                    // 
v_accvgpr_write_b32 acc135, v27                    // 
v_accvgpr_write_b32 acc167, v31                    // 
v_accvgpr_write_b32 acc199, v35                    // 
v_accvgpr_write_b32 acc231, v39                    // 
s_mov_b64 s[54:55], 0xFFFFFFFFFFFFFFFF             // to restore all threads active
s_or_saveexec_b64 vcc, s[54:55]                    // all threads active
s_nop 3                                            // wait for exec mask
v_accvgpr_read_b32 v8, acc7                        // 
v_accvgpr_read_b32 v12, acc39                      // 
v_accvgpr_read_b32 v16, acc71                      // 
v_accvgpr_read_b32 v20, acc103                     // 
v_accvgpr_read_b32 v24, acc135                     // 
v_accvgpr_read_b32 v28, acc167                     // 
v_accvgpr_read_b32 v32, acc199                     // 
v_accvgpr_read_b32 v36, acc231                     // 
s_nop 1                                            // v_accvgpr read vgpr after write vgpr: 2 wait states
s_mov_b32 s54, 1                                   // which thread need to shfit in this block
_v_cmpx_eq_u32 s[54:55], v7, s54                   // is thread in edge glvw region
s_nop 3                                            // wait for exec mask
v_accvgpr_write_b32 acc4, v8                       // 
v_accvgpr_write_b32 acc36, v12                     // 
v_accvgpr_write_b32 acc68, v16                     // 
v_accvgpr_write_b32 acc100, v20                    // 
v_accvgpr_write_b32 acc132, v24                    // 
v_accvgpr_write_b32 acc164, v28                    // 
v_accvgpr_write_b32 acc196, v32                    // 
v_accvgpr_write_b32 acc228, v36                    // 
s_mov_b64 s[54:55], 0xFFFFFFFFFFFFFFFF             // to restore all threads active
s_or_saveexec_b64 vcc, s[54:55]                    // all threads active
s_nop 3                                            // wait for exec mask
s_branch label_0106                                // done

/******************************************/
/* shift d0 shift=13 glvwblk=1            */
/******************************************/
label_0093:
v_and_b32 v6, 63, v[vgprSerial]                    // permute register between threads
v_lshlrev_b32 v6, 0x2, v6                          // permute register between threads
v_lshrrev_b32 v0, 5, v[vgprSerial]                 // v0 = v[vgprSerial] / 32
v_and_b32 v7, 1, v0                                // v7 = v0 % 2
v_accvgpr_read_b32 v8, acc11                       // 
v_accvgpr_read_b32 v12, acc43                      // 
v_accvgpr_read_b32 v16, acc75                      // 
v_accvgpr_read_b32 v20, acc107                     // 
v_accvgpr_read_b32 v24, acc139                     // 
v_accvgpr_read_b32 v28, acc171                     // 
v_accvgpr_read_b32 v32, acc203                     // 
v_accvgpr_read_b32 v36, acc235                     // 
v_accvgpr_read_b32 v9, acc8                        // 
v_accvgpr_read_b32 v13, acc40                      // 
v_accvgpr_read_b32 v17, acc72                      // 
v_accvgpr_read_b32 v21, acc104                     // 
v_accvgpr_read_b32 v25, acc136                     // 
v_accvgpr_read_b32 v29, acc168                     // 
v_accvgpr_read_b32 v33, acc200                     // 
v_accvgpr_read_b32 v37, acc232                     // 
v_accvgpr_read_b32 v10, acc9                       // 
v_accvgpr_read_b32 v14, acc41                      // 
v_accvgpr_read_b32 v18, acc73                      // 
v_accvgpr_read_b32 v22, acc105                     // 
v_accvgpr_read_b32 v26, acc137                     // 
v_accvgpr_read_b32 v30, acc169                     // 
v_accvgpr_read_b32 v34, acc201                     // 
v_accvgpr_read_b32 v38, acc233                     // 
v_accvgpr_read_b32 v11, acc10                      // 
v_accvgpr_read_b32 v15, acc42                      // 
v_accvgpr_read_b32 v19, acc74                      // 
v_accvgpr_read_b32 v23, acc106                     // 
v_accvgpr_read_b32 v27, acc138                     // 
v_accvgpr_read_b32 v31, acc170                     // 
v_accvgpr_read_b32 v35, acc202                     // 
v_accvgpr_read_b32 v39, acc234                     // 
s_nop 1                                            // v_accvgpr read vgpr after write vgpr: 2 wait states
ds_bpermute_b32 v9, v6, v9, offset:128             // permute edge values
ds_bpermute_b32 v13, v6, v13, offset:128           // permute edge values
ds_bpermute_b32 v17, v6, v17, offset:128           // permute edge values
	;; [unrolled: 1-line block ×23, first 2 shown]
s_waitcnt lgkmcnt(0)                               // wait for swizzle operation
s_mov_b32 s54, 0                                   // which thread need to shfit in this block
_v_cmpx_eq_u32 s[54:55], v7, s54                   // is thread in edge glvw region
s_nop 3                                            // wait for exec mask
v_accvgpr_write_b32 acc8, v8                       // 
v_accvgpr_write_b32 acc40, v12                     // 
v_accvgpr_write_b32 acc72, v16                     // 
v_accvgpr_write_b32 acc104, v20                    // 
v_accvgpr_write_b32 acc136, v24                    // 
v_accvgpr_write_b32 acc168, v28                    // 
v_accvgpr_write_b32 acc200, v32                    // 
v_accvgpr_write_b32 acc232, v36                    // 
v_accvgpr_write_b32 acc9, v9                       // 
v_accvgpr_write_b32 acc41, v13                     // 
v_accvgpr_write_b32 acc73, v17                     // 
v_accvgpr_write_b32 acc105, v21                    // 
v_accvgpr_write_b32 acc137, v25                    // 
v_accvgpr_write_b32 acc169, v29                    // 
v_accvgpr_write_b32 acc201, v33                    // 
v_accvgpr_write_b32 acc233, v37                    // 
v_accvgpr_write_b32 acc10, v10                     // 
v_accvgpr_write_b32 acc42, v14                     // 
v_accvgpr_write_b32 acc74, v18                     // 
v_accvgpr_write_b32 acc106, v22                    // 
v_accvgpr_write_b32 acc138, v26                    // 
v_accvgpr_write_b32 acc170, v30                    // 
v_accvgpr_write_b32 acc202, v34                    // 
v_accvgpr_write_b32 acc234, v38                    // 
v_accvgpr_write_b32 acc11, v11                     // 
v_accvgpr_write_b32 acc43, v15                     // 
v_accvgpr_write_b32 acc75, v19                     // 
v_accvgpr_write_b32 acc107, v23                    // 
v_accvgpr_write_b32 acc139, v27                    // 
v_accvgpr_write_b32 acc171, v31                    // 
v_accvgpr_write_b32 acc203, v35                    // 
v_accvgpr_write_b32 acc235, v39                    // 
s_mov_b64 s[54:55], 0xFFFFFFFFFFFFFFFF             // to restore all threads active
s_or_saveexec_b64 vcc, s[54:55]                    // all threads active
s_nop 3                                            // wait for exec mask
v_accvgpr_read_b32 v8, acc11                       // 
v_accvgpr_read_b32 v12, acc43                      // 
v_accvgpr_read_b32 v16, acc75                      // 
v_accvgpr_read_b32 v20, acc107                     // 
v_accvgpr_read_b32 v24, acc139                     // 
v_accvgpr_read_b32 v28, acc171                     // 
v_accvgpr_read_b32 v32, acc203                     // 
v_accvgpr_read_b32 v36, acc235                     // 
v_accvgpr_read_b32 v9, acc12                       // 
v_accvgpr_read_b32 v13, acc44                      // 
v_accvgpr_read_b32 v17, acc76                      // 
v_accvgpr_read_b32 v21, acc108                     // 
v_accvgpr_read_b32 v25, acc140                     // 
v_accvgpr_read_b32 v29, acc172                     // 
v_accvgpr_read_b32 v33, acc204                     // 
v_accvgpr_read_b32 v37, acc236                     // 
v_accvgpr_read_b32 v10, acc13                      // 
v_accvgpr_read_b32 v14, acc45                      // 
v_accvgpr_read_b32 v18, acc77                      // 
v_accvgpr_read_b32 v22, acc109                     // 
v_accvgpr_read_b32 v26, acc141                     // 
v_accvgpr_read_b32 v30, acc173                     // 
v_accvgpr_read_b32 v34, acc205                     // 
v_accvgpr_read_b32 v38, acc237                     // 
v_accvgpr_read_b32 v11, acc14                      // 
v_accvgpr_read_b32 v15, acc46                      // 
v_accvgpr_read_b32 v19, acc78                      // 
v_accvgpr_read_b32 v23, acc110                     // 
v_accvgpr_read_b32 v27, acc142                     // 
v_accvgpr_read_b32 v31, acc174                     // 
v_accvgpr_read_b32 v35, acc206                     // 
v_accvgpr_read_b32 v39, acc238                     // 
s_nop 1                                            // v_accvgpr read vgpr after write vgpr: 2 wait states
ds_bpermute_b32 v9, v6, v9, offset:128             // permute edge values
ds_bpermute_b32 v13, v6, v13, offset:128           // permute edge values
ds_bpermute_b32 v17, v6, v17, offset:128           // permute edge values
	;; [unrolled: 1-line block ×23, first 2 shown]
s_waitcnt lgkmcnt(0)                               // wait for swizzle operation
s_mov_b32 s54, 1                                   // which thread need to shfit in this block
_v_cmpx_eq_u32 s[54:55], v7, s54                   // is thread in edge glvw region
s_nop 3                                            // wait for exec mask
v_accvgpr_write_b32 acc8, v8                       // 
v_accvgpr_write_b32 acc40, v12                     // 
v_accvgpr_write_b32 acc72, v16                     // 
v_accvgpr_write_b32 acc104, v20                    // 
v_accvgpr_write_b32 acc136, v24                    // 
v_accvgpr_write_b32 acc168, v28                    // 
v_accvgpr_write_b32 acc200, v32                    // 
v_accvgpr_write_b32 acc232, v36                    // 
v_accvgpr_write_b32 acc9, v9                       // 
v_accvgpr_write_b32 acc41, v13                     // 
v_accvgpr_write_b32 acc73, v17                     // 
v_accvgpr_write_b32 acc105, v21                    // 
v_accvgpr_write_b32 acc137, v25                    // 
v_accvgpr_write_b32 acc169, v29                    // 
v_accvgpr_write_b32 acc201, v33                    // 
v_accvgpr_write_b32 acc233, v37                    // 
v_accvgpr_write_b32 acc10, v10                     // 
v_accvgpr_write_b32 acc42, v14                     // 
v_accvgpr_write_b32 acc74, v18                     // 
v_accvgpr_write_b32 acc106, v22                    // 
v_accvgpr_write_b32 acc138, v26                    // 
v_accvgpr_write_b32 acc170, v30                    // 
v_accvgpr_write_b32 acc202, v34                    // 
v_accvgpr_write_b32 acc234, v38                    // 
v_accvgpr_write_b32 acc11, v11                     // 
v_accvgpr_write_b32 acc43, v15                     // 
v_accvgpr_write_b32 acc75, v19                     // 
v_accvgpr_write_b32 acc107, v23                    // 
v_accvgpr_write_b32 acc139, v27                    // 
v_accvgpr_write_b32 acc171, v31                    // 
v_accvgpr_write_b32 acc203, v35                    // 
v_accvgpr_write_b32 acc235, v39                    // 
s_mov_b64 s[54:55], 0xFFFFFFFFFFFFFFFF             // to restore all threads active
s_or_saveexec_b64 vcc, s[54:55]                    // all threads active
s_nop 3                                            // wait for exec mask
v_accvgpr_read_b32 v8, acc15                       // 
v_accvgpr_read_b32 v12, acc47                      // 
v_accvgpr_read_b32 v16, acc79                      // 
v_accvgpr_read_b32 v20, acc111                     // 
v_accvgpr_read_b32 v24, acc143                     // 
v_accvgpr_read_b32 v28, acc175                     // 
v_accvgpr_read_b32 v32, acc207                     // 
v_accvgpr_read_b32 v36, acc239                     // 
v_accvgpr_read_b32 v9, acc12                       // 
v_accvgpr_read_b32 v13, acc44                      // 
v_accvgpr_read_b32 v17, acc76                      // 
v_accvgpr_read_b32 v21, acc108                     // 
v_accvgpr_read_b32 v25, acc140                     // 
v_accvgpr_read_b32 v29, acc172                     // 
v_accvgpr_read_b32 v33, acc204                     // 
v_accvgpr_read_b32 v37, acc236                     // 
v_accvgpr_read_b32 v10, acc13                      // 
v_accvgpr_read_b32 v14, acc45                      // 
v_accvgpr_read_b32 v18, acc77                      // 
v_accvgpr_read_b32 v22, acc109                     // 
v_accvgpr_read_b32 v26, acc141                     // 
v_accvgpr_read_b32 v30, acc173                     // 
v_accvgpr_read_b32 v34, acc205                     // 
v_accvgpr_read_b32 v38, acc237                     // 
v_accvgpr_read_b32 v11, acc14                      // 
v_accvgpr_read_b32 v15, acc46                      // 
v_accvgpr_read_b32 v19, acc78                      // 
v_accvgpr_read_b32 v23, acc110                     // 
v_accvgpr_read_b32 v27, acc142                     // 
v_accvgpr_read_b32 v31, acc174                     // 
v_accvgpr_read_b32 v35, acc206                     // 
v_accvgpr_read_b32 v39, acc238                     // 
s_nop 1                                            // v_accvgpr read vgpr after write vgpr: 2 wait states
ds_bpermute_b32 v9, v6, v9, offset:128             // permute edge values
ds_bpermute_b32 v13, v6, v13, offset:128           // permute edge values
ds_bpermute_b32 v17, v6, v17, offset:128           // permute edge values
	;; [unrolled: 1-line block ×23, first 2 shown]
s_waitcnt lgkmcnt(0)                               // wait for swizzle operation
s_mov_b32 s54, 0                                   // which thread need to shfit in this block
_v_cmpx_eq_u32 s[54:55], v7, s54                   // is thread in edge glvw region
s_nop 3                                            // wait for exec mask
v_accvgpr_write_b32 acc12, v8                      // 
v_accvgpr_write_b32 acc44, v12                     // 
v_accvgpr_write_b32 acc76, v16                     // 
v_accvgpr_write_b32 acc108, v20                    // 
v_accvgpr_write_b32 acc140, v24                    // 
v_accvgpr_write_b32 acc172, v28                    // 
v_accvgpr_write_b32 acc204, v32                    // 
v_accvgpr_write_b32 acc236, v36                    // 
v_accvgpr_write_b32 acc13, v9                      // 
v_accvgpr_write_b32 acc45, v13                     // 
v_accvgpr_write_b32 acc77, v17                     // 
v_accvgpr_write_b32 acc109, v21                    // 
v_accvgpr_write_b32 acc141, v25                    // 
v_accvgpr_write_b32 acc173, v29                    // 
v_accvgpr_write_b32 acc205, v33                    // 
v_accvgpr_write_b32 acc237, v37                    // 
v_accvgpr_write_b32 acc14, v10                     // 
v_accvgpr_write_b32 acc46, v14                     // 
v_accvgpr_write_b32 acc78, v18                     // 
v_accvgpr_write_b32 acc110, v22                    // 
v_accvgpr_write_b32 acc142, v26                    // 
v_accvgpr_write_b32 acc174, v30                    // 
v_accvgpr_write_b32 acc206, v34                    // 
v_accvgpr_write_b32 acc238, v38                    // 
v_accvgpr_write_b32 acc15, v11                     // 
v_accvgpr_write_b32 acc47, v15                     // 
v_accvgpr_write_b32 acc79, v19                     // 
v_accvgpr_write_b32 acc111, v23                    // 
v_accvgpr_write_b32 acc143, v27                    // 
v_accvgpr_write_b32 acc175, v31                    // 
v_accvgpr_write_b32 acc207, v35                    // 
v_accvgpr_write_b32 acc239, v39                    // 
s_mov_b64 s[54:55], 0xFFFFFFFFFFFFFFFF             // to restore all threads active
s_or_saveexec_b64 vcc, s[54:55]                    // all threads active
s_nop 3                                            // wait for exec mask
v_accvgpr_read_b32 v8, acc15                       // 
v_accvgpr_read_b32 v12, acc47                      // 
v_accvgpr_read_b32 v16, acc79                      // 
v_accvgpr_read_b32 v20, acc111                     // 
v_accvgpr_read_b32 v24, acc143                     // 
v_accvgpr_read_b32 v28, acc175                     // 
v_accvgpr_read_b32 v32, acc207                     // 
v_accvgpr_read_b32 v36, acc239                     // 
s_nop 1                                            // v_accvgpr read vgpr after write vgpr: 2 wait states
s_mov_b32 s54, 1                                   // which thread need to shfit in this block
_v_cmpx_eq_u32 s[54:55], v7, s54                   // is thread in edge glvw region
s_nop 3                                            // wait for exec mask
v_accvgpr_write_b32 acc12, v8                      // 
v_accvgpr_write_b32 acc44, v12                     // 
v_accvgpr_write_b32 acc76, v16                     // 
v_accvgpr_write_b32 acc108, v20                    // 
v_accvgpr_write_b32 acc140, v24                    // 
v_accvgpr_write_b32 acc172, v28                    // 
v_accvgpr_write_b32 acc204, v32                    // 
v_accvgpr_write_b32 acc236, v36                    // 
s_mov_b64 s[54:55], 0xFFFFFFFFFFFFFFFF             // to restore all threads active
s_or_saveexec_b64 vcc, s[54:55]                    // all threads active
s_nop 3                                            // wait for exec mask
s_branch label_0106                                // done

/******************************************/
/* shift d0 shift=13 glvwblk=0            */
/******************************************/
label_0094:
v_and_b32 v6, 63, v[vgprSerial]                    // permute register between threads
v_lshlrev_b32 v6, 0x2, v6                          // permute register between threads
v_lshrrev_b32 v0, 5, v[vgprSerial]                 // v0 = v[vgprSerial] / 32
v_and_b32 v7, 1, v0                                // v7 = v0 % 2
v_accvgpr_read_b32 v8, acc19                       // 
v_accvgpr_read_b32 v12, acc51                      // 
v_accvgpr_read_b32 v16, acc83                      // 
v_accvgpr_read_b32 v20, acc115                     // 
v_accvgpr_read_b32 v24, acc147                     // 
v_accvgpr_read_b32 v28, acc179                     // 
v_accvgpr_read_b32 v32, acc211                     // 
v_accvgpr_read_b32 v36, acc243                     // 
v_accvgpr_read_b32 v9, acc16                       // 
v_accvgpr_read_b32 v13, acc48                      // 
v_accvgpr_read_b32 v17, acc80                      // 
v_accvgpr_read_b32 v21, acc112                     // 
v_accvgpr_read_b32 v25, acc144                     // 
v_accvgpr_read_b32 v29, acc176                     // 
v_accvgpr_read_b32 v33, acc208                     // 
v_accvgpr_read_b32 v37, acc240                     // 
v_accvgpr_read_b32 v10, acc17                      // 
v_accvgpr_read_b32 v14, acc49                      // 
v_accvgpr_read_b32 v18, acc81                      // 
v_accvgpr_read_b32 v22, acc113                     // 
v_accvgpr_read_b32 v26, acc145                     // 
v_accvgpr_read_b32 v30, acc177                     // 
v_accvgpr_read_b32 v34, acc209                     // 
v_accvgpr_read_b32 v38, acc241                     // 
v_accvgpr_read_b32 v11, acc18                      // 
v_accvgpr_read_b32 v15, acc50                      // 
v_accvgpr_read_b32 v19, acc82                      // 
v_accvgpr_read_b32 v23, acc114                     // 
v_accvgpr_read_b32 v27, acc146                     // 
v_accvgpr_read_b32 v31, acc178                     // 
v_accvgpr_read_b32 v35, acc210                     // 
v_accvgpr_read_b32 v39, acc242                     // 
s_nop 1                                            // v_accvgpr read vgpr after write vgpr: 2 wait states
ds_bpermute_b32 v9, v6, v9, offset:128             // permute edge values
ds_bpermute_b32 v13, v6, v13, offset:128           // permute edge values
ds_bpermute_b32 v17, v6, v17, offset:128           // permute edge values
	;; [unrolled: 1-line block ×23, first 2 shown]
s_waitcnt lgkmcnt(0)                               // wait for swizzle operation
s_mov_b32 s54, 0                                   // which thread need to shfit in this block
_v_cmpx_eq_u32 s[54:55], v7, s54                   // is thread in edge glvw region
s_nop 3                                            // wait for exec mask
v_accvgpr_write_b32 acc16, v8                      // 
v_accvgpr_write_b32 acc48, v12                     // 
v_accvgpr_write_b32 acc80, v16                     // 
v_accvgpr_write_b32 acc112, v20                    // 
v_accvgpr_write_b32 acc144, v24                    // 
v_accvgpr_write_b32 acc176, v28                    // 
v_accvgpr_write_b32 acc208, v32                    // 
v_accvgpr_write_b32 acc240, v36                    // 
v_accvgpr_write_b32 acc17, v9                      // 
v_accvgpr_write_b32 acc49, v13                     // 
v_accvgpr_write_b32 acc81, v17                     // 
v_accvgpr_write_b32 acc113, v21                    // 
v_accvgpr_write_b32 acc145, v25                    // 
v_accvgpr_write_b32 acc177, v29                    // 
v_accvgpr_write_b32 acc209, v33                    // 
v_accvgpr_write_b32 acc241, v37                    // 
v_accvgpr_write_b32 acc18, v10                     // 
v_accvgpr_write_b32 acc50, v14                     // 
v_accvgpr_write_b32 acc82, v18                     // 
v_accvgpr_write_b32 acc114, v22                    // 
v_accvgpr_write_b32 acc146, v26                    // 
v_accvgpr_write_b32 acc178, v30                    // 
v_accvgpr_write_b32 acc210, v34                    // 
v_accvgpr_write_b32 acc242, v38                    // 
v_accvgpr_write_b32 acc19, v11                     // 
v_accvgpr_write_b32 acc51, v15                     // 
v_accvgpr_write_b32 acc83, v19                     // 
v_accvgpr_write_b32 acc115, v23                    // 
v_accvgpr_write_b32 acc147, v27                    // 
v_accvgpr_write_b32 acc179, v31                    // 
v_accvgpr_write_b32 acc211, v35                    // 
v_accvgpr_write_b32 acc243, v39                    // 
s_mov_b64 s[54:55], 0xFFFFFFFFFFFFFFFF             // to restore all threads active
s_or_saveexec_b64 vcc, s[54:55]                    // all threads active
s_nop 3                                            // wait for exec mask
v_accvgpr_read_b32 v8, acc19                       // 
v_accvgpr_read_b32 v12, acc51                      // 
v_accvgpr_read_b32 v16, acc83                      // 
v_accvgpr_read_b32 v20, acc115                     // 
v_accvgpr_read_b32 v24, acc147                     // 
v_accvgpr_read_b32 v28, acc179                     // 
v_accvgpr_read_b32 v32, acc211                     // 
v_accvgpr_read_b32 v36, acc243                     // 
v_accvgpr_read_b32 v9, acc20                       // 
v_accvgpr_read_b32 v13, acc52                      // 
v_accvgpr_read_b32 v17, acc84                      // 
v_accvgpr_read_b32 v21, acc116                     // 
v_accvgpr_read_b32 v25, acc148                     // 
v_accvgpr_read_b32 v29, acc180                     // 
v_accvgpr_read_b32 v33, acc212                     // 
v_accvgpr_read_b32 v37, acc244                     // 
v_accvgpr_read_b32 v10, acc21                      // 
v_accvgpr_read_b32 v14, acc53                      // 
v_accvgpr_read_b32 v18, acc85                      // 
v_accvgpr_read_b32 v22, acc117                     // 
v_accvgpr_read_b32 v26, acc149                     // 
v_accvgpr_read_b32 v30, acc181                     // 
v_accvgpr_read_b32 v34, acc213                     // 
v_accvgpr_read_b32 v38, acc245                     // 
v_accvgpr_read_b32 v11, acc22                      // 
v_accvgpr_read_b32 v15, acc54                      // 
v_accvgpr_read_b32 v19, acc86                      // 
v_accvgpr_read_b32 v23, acc118                     // 
v_accvgpr_read_b32 v27, acc150                     // 
v_accvgpr_read_b32 v31, acc182                     // 
v_accvgpr_read_b32 v35, acc214                     // 
v_accvgpr_read_b32 v39, acc246                     // 
s_nop 1                                            // v_accvgpr read vgpr after write vgpr: 2 wait states
ds_bpermute_b32 v9, v6, v9, offset:128             // permute edge values
ds_bpermute_b32 v13, v6, v13, offset:128           // permute edge values
ds_bpermute_b32 v17, v6, v17, offset:128           // permute edge values
	;; [unrolled: 1-line block ×23, first 2 shown]
s_waitcnt lgkmcnt(0)                               // wait for swizzle operation
s_mov_b32 s54, 1                                   // which thread need to shfit in this block
_v_cmpx_eq_u32 s[54:55], v7, s54                   // is thread in edge glvw region
s_nop 3                                            // wait for exec mask
v_accvgpr_write_b32 acc16, v8                      // 
v_accvgpr_write_b32 acc48, v12                     // 
v_accvgpr_write_b32 acc80, v16                     // 
v_accvgpr_write_b32 acc112, v20                    // 
v_accvgpr_write_b32 acc144, v24                    // 
v_accvgpr_write_b32 acc176, v28                    // 
v_accvgpr_write_b32 acc208, v32                    // 
v_accvgpr_write_b32 acc240, v36                    // 
v_accvgpr_write_b32 acc17, v9                      // 
v_accvgpr_write_b32 acc49, v13                     // 
v_accvgpr_write_b32 acc81, v17                     // 
v_accvgpr_write_b32 acc113, v21                    // 
v_accvgpr_write_b32 acc145, v25                    // 
v_accvgpr_write_b32 acc177, v29                    // 
v_accvgpr_write_b32 acc209, v33                    // 
v_accvgpr_write_b32 acc241, v37                    // 
v_accvgpr_write_b32 acc18, v10                     // 
v_accvgpr_write_b32 acc50, v14                     // 
v_accvgpr_write_b32 acc82, v18                     // 
v_accvgpr_write_b32 acc114, v22                    // 
v_accvgpr_write_b32 acc146, v26                    // 
v_accvgpr_write_b32 acc178, v30                    // 
v_accvgpr_write_b32 acc210, v34                    // 
v_accvgpr_write_b32 acc242, v38                    // 
v_accvgpr_write_b32 acc19, v11                     // 
v_accvgpr_write_b32 acc51, v15                     // 
v_accvgpr_write_b32 acc83, v19                     // 
v_accvgpr_write_b32 acc115, v23                    // 
v_accvgpr_write_b32 acc147, v27                    // 
v_accvgpr_write_b32 acc179, v31                    // 
v_accvgpr_write_b32 acc211, v35                    // 
v_accvgpr_write_b32 acc243, v39                    // 
s_mov_b64 s[54:55], 0xFFFFFFFFFFFFFFFF             // to restore all threads active
s_or_saveexec_b64 vcc, s[54:55]                    // all threads active
s_nop 3                                            // wait for exec mask
v_accvgpr_read_b32 v8, acc23                       // 
v_accvgpr_read_b32 v12, acc55                      // 
v_accvgpr_read_b32 v16, acc87                      // 
v_accvgpr_read_b32 v20, acc119                     // 
v_accvgpr_read_b32 v24, acc151                     // 
v_accvgpr_read_b32 v28, acc183                     // 
v_accvgpr_read_b32 v32, acc215                     // 
v_accvgpr_read_b32 v36, acc247                     // 
v_accvgpr_read_b32 v9, acc20                       // 
v_accvgpr_read_b32 v13, acc52                      // 
v_accvgpr_read_b32 v17, acc84                      // 
v_accvgpr_read_b32 v21, acc116                     // 
v_accvgpr_read_b32 v25, acc148                     // 
v_accvgpr_read_b32 v29, acc180                     // 
v_accvgpr_read_b32 v33, acc212                     // 
v_accvgpr_read_b32 v37, acc244                     // 
v_accvgpr_read_b32 v10, acc21                      // 
v_accvgpr_read_b32 v14, acc53                      // 
v_accvgpr_read_b32 v18, acc85                      // 
v_accvgpr_read_b32 v22, acc117                     // 
v_accvgpr_read_b32 v26, acc149                     // 
v_accvgpr_read_b32 v30, acc181                     // 
v_accvgpr_read_b32 v34, acc213                     // 
v_accvgpr_read_b32 v38, acc245                     // 
v_accvgpr_read_b32 v11, acc22                      // 
v_accvgpr_read_b32 v15, acc54                      // 
v_accvgpr_read_b32 v19, acc86                      // 
v_accvgpr_read_b32 v23, acc118                     // 
v_accvgpr_read_b32 v27, acc150                     // 
v_accvgpr_read_b32 v31, acc182                     // 
v_accvgpr_read_b32 v35, acc214                     // 
v_accvgpr_read_b32 v39, acc246                     // 
s_nop 1                                            // v_accvgpr read vgpr after write vgpr: 2 wait states
ds_bpermute_b32 v9, v6, v9, offset:128             // permute edge values
ds_bpermute_b32 v13, v6, v13, offset:128           // permute edge values
ds_bpermute_b32 v17, v6, v17, offset:128           // permute edge values
ds_bpermute_b32 v21, v6, v21, offset:128           // permute edge values
ds_bpermute_b32 v25, v6, v25, offset:128           // permute edge values
ds_bpermute_b32 v29, v6, v29, offset:128           // permute edge values
ds_bpermute_b32 v33, v6, v33, offset:128           // permute edge values
ds_bpermute_b32 v37, v6, v37, offset:128           // permute edge values
ds_bpermute_b32 v10, v6, v10, offset:128           // permute edge values
ds_bpermute_b32 v14, v6, v14, offset:128           // permute edge values
ds_bpermute_b32 v18, v6, v18, offset:128           // permute edge values
ds_bpermute_b32 v22, v6, v22, offset:128           // permute edge values
ds_bpermute_b32 v26, v6, v26, offset:128           // permute edge values
ds_bpermute_b32 v30, v6, v30, offset:128           // permute edge values
ds_bpermute_b32 v34, v6, v34, offset:128           // permute edge values
ds_bpermute_b32 v38, v6, v38, offset:128           // permute edge values
ds_bpermute_b32 v11, v6, v11, offset:128           // permute edge values
ds_bpermute_b32 v15, v6, v15, offset:128           // permute edge values
ds_bpermute_b32 v19, v6, v19, offset:128           // permute edge values
ds_bpermute_b32 v23, v6, v23, offset:128           // permute edge values
ds_bpermute_b32 v27, v6, v27, offset:128           // permute edge values
ds_bpermute_b32 v31, v6, v31, offset:128           // permute edge values
ds_bpermute_b32 v35, v6, v35, offset:128           // permute edge values
ds_bpermute_b32 v39, v6, v39, offset:128           // permute edge values
s_waitcnt lgkmcnt(0)                               // wait for swizzle operation
s_mov_b32 s54, 0                                   // which thread need to shfit in this block
_v_cmpx_eq_u32 s[54:55], v7, s54                   // is thread in edge glvw region
s_nop 3                                            // wait for exec mask
v_accvgpr_write_b32 acc20, v8                      // 
v_accvgpr_write_b32 acc52, v12                     // 
v_accvgpr_write_b32 acc84, v16                     // 
v_accvgpr_write_b32 acc116, v20                    // 
v_accvgpr_write_b32 acc148, v24                    // 
v_accvgpr_write_b32 acc180, v28                    // 
v_accvgpr_write_b32 acc212, v32                    // 
v_accvgpr_write_b32 acc244, v36                    // 
v_accvgpr_write_b32 acc21, v9                      // 
v_accvgpr_write_b32 acc53, v13                     // 
v_accvgpr_write_b32 acc85, v17                     // 
v_accvgpr_write_b32 acc117, v21                    // 
v_accvgpr_write_b32 acc149, v25                    // 
v_accvgpr_write_b32 acc181, v29                    // 
v_accvgpr_write_b32 acc213, v33                    // 
v_accvgpr_write_b32 acc245, v37                    // 
v_accvgpr_write_b32 acc22, v10                     // 
v_accvgpr_write_b32 acc54, v14                     // 
v_accvgpr_write_b32 acc86, v18                     // 
v_accvgpr_write_b32 acc118, v22                    // 
v_accvgpr_write_b32 acc150, v26                    // 
v_accvgpr_write_b32 acc182, v30                    // 
v_accvgpr_write_b32 acc214, v34                    // 
v_accvgpr_write_b32 acc246, v38                    // 
v_accvgpr_write_b32 acc23, v11                     // 
v_accvgpr_write_b32 acc55, v15                     // 
v_accvgpr_write_b32 acc87, v19                     // 
v_accvgpr_write_b32 acc119, v23                    // 
v_accvgpr_write_b32 acc151, v27                    // 
v_accvgpr_write_b32 acc183, v31                    // 
v_accvgpr_write_b32 acc215, v35                    // 
v_accvgpr_write_b32 acc247, v39                    // 
s_mov_b64 s[54:55], 0xFFFFFFFFFFFFFFFF             // to restore all threads active
s_or_saveexec_b64 vcc, s[54:55]                    // all threads active
s_nop 3                                            // wait for exec mask
v_accvgpr_read_b32 v8, acc23                       // 
v_accvgpr_read_b32 v12, acc55                      // 
v_accvgpr_read_b32 v16, acc87                      // 
v_accvgpr_read_b32 v20, acc119                     // 
v_accvgpr_read_b32 v24, acc151                     // 
v_accvgpr_read_b32 v28, acc183                     // 
v_accvgpr_read_b32 v32, acc215                     // 
v_accvgpr_read_b32 v36, acc247                     // 
s_nop 1                                            // v_accvgpr read vgpr after write vgpr: 2 wait states
s_mov_b32 s54, 1                                   // which thread need to shfit in this block
_v_cmpx_eq_u32 s[54:55], v7, s54                   // is thread in edge glvw region
s_nop 3                                            // wait for exec mask
v_accvgpr_write_b32 acc20, v8                      // 
v_accvgpr_write_b32 acc52, v12                     // 
v_accvgpr_write_b32 acc84, v16                     // 
v_accvgpr_write_b32 acc116, v20                    // 
v_accvgpr_write_b32 acc148, v24                    // 
v_accvgpr_write_b32 acc180, v28                    // 
v_accvgpr_write_b32 acc212, v32                    // 
v_accvgpr_write_b32 acc244, v36                    // 
s_mov_b64 s[54:55], 0xFFFFFFFFFFFFFFFF             // to restore all threads active
s_or_saveexec_b64 vcc, s[54:55]                    // all threads active
s_nop 3                                            // wait for exec mask
s_branch label_0106                                // done

/******************************************/
/* shift d0 shift=13 glvwblk=1            */
/******************************************/
label_0095:
v_and_b32 v6, 63, v[vgprSerial]                    // permute register between threads
v_lshlrev_b32 v6, 0x2, v6                          // permute register between threads
v_lshrrev_b32 v0, 5, v[vgprSerial]                 // v0 = v[vgprSerial] / 32
v_and_b32 v7, 1, v0                                // v7 = v0 % 2
v_accvgpr_read_b32 v8, acc27                       // 
v_accvgpr_read_b32 v12, acc59                      // 
v_accvgpr_read_b32 v16, acc91                      // 
v_accvgpr_read_b32 v20, acc123                     // 
v_accvgpr_read_b32 v24, acc155                     // 
v_accvgpr_read_b32 v28, acc187                     // 
v_accvgpr_read_b32 v32, acc219                     // 
v_accvgpr_read_b32 v36, acc251                     // 
v_accvgpr_read_b32 v9, acc24                       // 
v_accvgpr_read_b32 v13, acc56                      // 
v_accvgpr_read_b32 v17, acc88                      // 
v_accvgpr_read_b32 v21, acc120                     // 
v_accvgpr_read_b32 v25, acc152                     // 
v_accvgpr_read_b32 v29, acc184                     // 
v_accvgpr_read_b32 v33, acc216                     // 
v_accvgpr_read_b32 v37, acc248                     // 
v_accvgpr_read_b32 v10, acc25                      // 
v_accvgpr_read_b32 v14, acc57                      // 
v_accvgpr_read_b32 v18, acc89                      // 
v_accvgpr_read_b32 v22, acc121                     // 
v_accvgpr_read_b32 v26, acc153                     // 
v_accvgpr_read_b32 v30, acc185                     // 
v_accvgpr_read_b32 v34, acc217                     // 
v_accvgpr_read_b32 v38, acc249                     // 
v_accvgpr_read_b32 v11, acc26                      // 
v_accvgpr_read_b32 v15, acc58                      // 
v_accvgpr_read_b32 v19, acc90                      // 
v_accvgpr_read_b32 v23, acc122                     // 
v_accvgpr_read_b32 v27, acc154                     // 
v_accvgpr_read_b32 v31, acc186                     // 
v_accvgpr_read_b32 v35, acc218                     // 
v_accvgpr_read_b32 v39, acc250                     // 
s_nop 1                                            // v_accvgpr read vgpr after write vgpr: 2 wait states
ds_bpermute_b32 v9, v6, v9, offset:128             // permute edge values
ds_bpermute_b32 v13, v6, v13, offset:128           // permute edge values
ds_bpermute_b32 v17, v6, v17, offset:128           // permute edge values
	;; [unrolled: 1-line block ×23, first 2 shown]
s_waitcnt lgkmcnt(0)                               // wait for swizzle operation
s_mov_b32 s54, 0                                   // which thread need to shfit in this block
_v_cmpx_eq_u32 s[54:55], v7, s54                   // is thread in edge glvw region
s_nop 3                                            // wait for exec mask
v_accvgpr_write_b32 acc24, v8                      // 
v_accvgpr_write_b32 acc56, v12                     // 
v_accvgpr_write_b32 acc88, v16                     // 
v_accvgpr_write_b32 acc120, v20                    // 
v_accvgpr_write_b32 acc152, v24                    // 
v_accvgpr_write_b32 acc184, v28                    // 
v_accvgpr_write_b32 acc216, v32                    // 
v_accvgpr_write_b32 acc248, v36                    // 
v_accvgpr_write_b32 acc25, v9                      // 
v_accvgpr_write_b32 acc57, v13                     // 
v_accvgpr_write_b32 acc89, v17                     // 
v_accvgpr_write_b32 acc121, v21                    // 
v_accvgpr_write_b32 acc153, v25                    // 
v_accvgpr_write_b32 acc185, v29                    // 
v_accvgpr_write_b32 acc217, v33                    // 
v_accvgpr_write_b32 acc249, v37                    // 
v_accvgpr_write_b32 acc26, v10                     // 
v_accvgpr_write_b32 acc58, v14                     // 
v_accvgpr_write_b32 acc90, v18                     // 
v_accvgpr_write_b32 acc122, v22                    // 
v_accvgpr_write_b32 acc154, v26                    // 
v_accvgpr_write_b32 acc186, v30                    // 
v_accvgpr_write_b32 acc218, v34                    // 
v_accvgpr_write_b32 acc250, v38                    // 
v_accvgpr_write_b32 acc27, v11                     // 
v_accvgpr_write_b32 acc59, v15                     // 
v_accvgpr_write_b32 acc91, v19                     // 
v_accvgpr_write_b32 acc123, v23                    // 
v_accvgpr_write_b32 acc155, v27                    // 
v_accvgpr_write_b32 acc187, v31                    // 
v_accvgpr_write_b32 acc219, v35                    // 
v_accvgpr_write_b32 acc251, v39                    // 
s_mov_b64 s[54:55], 0xFFFFFFFFFFFFFFFF             // to restore all threads active
s_or_saveexec_b64 vcc, s[54:55]                    // all threads active
s_nop 3                                            // wait for exec mask
v_accvgpr_read_b32 v8, acc27                       // 
v_accvgpr_read_b32 v12, acc59                      // 
v_accvgpr_read_b32 v16, acc91                      // 
v_accvgpr_read_b32 v20, acc123                     // 
v_accvgpr_read_b32 v24, acc155                     // 
v_accvgpr_read_b32 v28, acc187                     // 
v_accvgpr_read_b32 v32, acc219                     // 
v_accvgpr_read_b32 v36, acc251                     // 
v_accvgpr_read_b32 v9, acc28                       // 
v_accvgpr_read_b32 v13, acc60                      // 
v_accvgpr_read_b32 v17, acc92                      // 
v_accvgpr_read_b32 v21, acc124                     // 
v_accvgpr_read_b32 v25, acc156                     // 
v_accvgpr_read_b32 v29, acc188                     // 
v_accvgpr_read_b32 v33, acc220                     // 
v_accvgpr_read_b32 v37, acc252                     // 
v_accvgpr_read_b32 v10, acc29                      // 
v_accvgpr_read_b32 v14, acc61                      // 
v_accvgpr_read_b32 v18, acc93                      // 
v_accvgpr_read_b32 v22, acc125                     // 
v_accvgpr_read_b32 v26, acc157                     // 
v_accvgpr_read_b32 v30, acc189                     // 
v_accvgpr_read_b32 v34, acc221                     // 
v_accvgpr_read_b32 v38, acc253                     // 
v_accvgpr_read_b32 v11, acc30                      // 
v_accvgpr_read_b32 v15, acc62                      // 
v_accvgpr_read_b32 v19, acc94                      // 
v_accvgpr_read_b32 v23, acc126                     // 
v_accvgpr_read_b32 v27, acc158                     // 
v_accvgpr_read_b32 v31, acc190                     // 
v_accvgpr_read_b32 v35, acc222                     // 
v_accvgpr_read_b32 v39, acc254                     // 
s_nop 1                                            // v_accvgpr read vgpr after write vgpr: 2 wait states
ds_bpermute_b32 v9, v6, v9, offset:128             // permute edge values
ds_bpermute_b32 v13, v6, v13, offset:128           // permute edge values
ds_bpermute_b32 v17, v6, v17, offset:128           // permute edge values
	;; [unrolled: 1-line block ×23, first 2 shown]
s_waitcnt lgkmcnt(0)                               // wait for swizzle operation
s_mov_b32 s54, 1                                   // which thread need to shfit in this block
_v_cmpx_eq_u32 s[54:55], v7, s54                   // is thread in edge glvw region
s_nop 3                                            // wait for exec mask
v_accvgpr_write_b32 acc24, v8                      // 
v_accvgpr_write_b32 acc56, v12                     // 
v_accvgpr_write_b32 acc88, v16                     // 
v_accvgpr_write_b32 acc120, v20                    // 
v_accvgpr_write_b32 acc152, v24                    // 
v_accvgpr_write_b32 acc184, v28                    // 
v_accvgpr_write_b32 acc216, v32                    // 
v_accvgpr_write_b32 acc248, v36                    // 
v_accvgpr_write_b32 acc25, v9                      // 
v_accvgpr_write_b32 acc57, v13                     // 
v_accvgpr_write_b32 acc89, v17                     // 
v_accvgpr_write_b32 acc121, v21                    // 
v_accvgpr_write_b32 acc153, v25                    // 
v_accvgpr_write_b32 acc185, v29                    // 
v_accvgpr_write_b32 acc217, v33                    // 
v_accvgpr_write_b32 acc249, v37                    // 
v_accvgpr_write_b32 acc26, v10                     // 
v_accvgpr_write_b32 acc58, v14                     // 
v_accvgpr_write_b32 acc90, v18                     // 
v_accvgpr_write_b32 acc122, v22                    // 
v_accvgpr_write_b32 acc154, v26                    // 
v_accvgpr_write_b32 acc186, v30                    // 
v_accvgpr_write_b32 acc218, v34                    // 
v_accvgpr_write_b32 acc250, v38                    // 
v_accvgpr_write_b32 acc27, v11                     // 
v_accvgpr_write_b32 acc59, v15                     // 
v_accvgpr_write_b32 acc91, v19                     // 
v_accvgpr_write_b32 acc123, v23                    // 
v_accvgpr_write_b32 acc155, v27                    // 
v_accvgpr_write_b32 acc187, v31                    // 
v_accvgpr_write_b32 acc219, v35                    // 
v_accvgpr_write_b32 acc251, v39                    // 
s_mov_b64 s[54:55], 0xFFFFFFFFFFFFFFFF             // to restore all threads active
s_or_saveexec_b64 vcc, s[54:55]                    // all threads active
s_nop 3                                            // wait for exec mask
v_accvgpr_read_b32 v8, acc31                       // 
v_accvgpr_read_b32 v12, acc63                      // 
v_accvgpr_read_b32 v16, acc95                      // 
v_accvgpr_read_b32 v20, acc127                     // 
v_accvgpr_read_b32 v24, acc159                     // 
v_accvgpr_read_b32 v28, acc191                     // 
v_accvgpr_read_b32 v32, acc223                     // 
v_accvgpr_read_b32 v36, acc255                     // 
v_accvgpr_read_b32 v9, acc28                       // 
v_accvgpr_read_b32 v13, acc60                      // 
v_accvgpr_read_b32 v17, acc92                      // 
v_accvgpr_read_b32 v21, acc124                     // 
v_accvgpr_read_b32 v25, acc156                     // 
v_accvgpr_read_b32 v29, acc188                     // 
v_accvgpr_read_b32 v33, acc220                     // 
v_accvgpr_read_b32 v37, acc252                     // 
v_accvgpr_read_b32 v10, acc29                      // 
v_accvgpr_read_b32 v14, acc61                      // 
v_accvgpr_read_b32 v18, acc93                      // 
v_accvgpr_read_b32 v22, acc125                     // 
v_accvgpr_read_b32 v26, acc157                     // 
v_accvgpr_read_b32 v30, acc189                     // 
v_accvgpr_read_b32 v34, acc221                     // 
v_accvgpr_read_b32 v38, acc253                     // 
v_accvgpr_read_b32 v11, acc30                      // 
v_accvgpr_read_b32 v15, acc62                      // 
v_accvgpr_read_b32 v19, acc94                      // 
v_accvgpr_read_b32 v23, acc126                     // 
v_accvgpr_read_b32 v27, acc158                     // 
v_accvgpr_read_b32 v31, acc190                     // 
v_accvgpr_read_b32 v35, acc222                     // 
v_accvgpr_read_b32 v39, acc254                     // 
s_nop 1                                            // v_accvgpr read vgpr after write vgpr: 2 wait states
ds_bpermute_b32 v9, v6, v9, offset:128             // permute edge values
ds_bpermute_b32 v13, v6, v13, offset:128           // permute edge values
ds_bpermute_b32 v17, v6, v17, offset:128           // permute edge values
	;; [unrolled: 1-line block ×23, first 2 shown]
s_waitcnt lgkmcnt(0)                               // wait for swizzle operation
s_mov_b32 s54, 0                                   // which thread need to shfit in this block
_v_cmpx_eq_u32 s[54:55], v7, s54                   // is thread in edge glvw region
s_nop 3                                            // wait for exec mask
v_accvgpr_write_b32 acc28, v8                      // 
v_accvgpr_write_b32 acc60, v12                     // 
v_accvgpr_write_b32 acc92, v16                     // 
v_accvgpr_write_b32 acc124, v20                    // 
v_accvgpr_write_b32 acc156, v24                    // 
v_accvgpr_write_b32 acc188, v28                    // 
v_accvgpr_write_b32 acc220, v32                    // 
v_accvgpr_write_b32 acc252, v36                    // 
v_accvgpr_write_b32 acc29, v9                      // 
v_accvgpr_write_b32 acc61, v13                     // 
v_accvgpr_write_b32 acc93, v17                     // 
v_accvgpr_write_b32 acc125, v21                    // 
v_accvgpr_write_b32 acc157, v25                    // 
v_accvgpr_write_b32 acc189, v29                    // 
v_accvgpr_write_b32 acc221, v33                    // 
v_accvgpr_write_b32 acc253, v37                    // 
v_accvgpr_write_b32 acc30, v10                     // 
v_accvgpr_write_b32 acc62, v14                     // 
v_accvgpr_write_b32 acc94, v18                     // 
v_accvgpr_write_b32 acc126, v22                    // 
v_accvgpr_write_b32 acc158, v26                    // 
v_accvgpr_write_b32 acc190, v30                    // 
v_accvgpr_write_b32 acc222, v34                    // 
v_accvgpr_write_b32 acc254, v38                    // 
v_accvgpr_write_b32 acc31, v11                     // 
v_accvgpr_write_b32 acc63, v15                     // 
v_accvgpr_write_b32 acc95, v19                     // 
v_accvgpr_write_b32 acc127, v23                    // 
v_accvgpr_write_b32 acc159, v27                    // 
v_accvgpr_write_b32 acc191, v31                    // 
v_accvgpr_write_b32 acc223, v35                    // 
v_accvgpr_write_b32 acc255, v39                    // 
s_mov_b64 s[54:55], 0xFFFFFFFFFFFFFFFF             // to restore all threads active
s_or_saveexec_b64 vcc, s[54:55]                    // all threads active
s_nop 3                                            // wait for exec mask
v_accvgpr_read_b32 v8, acc31                       // 
v_accvgpr_read_b32 v12, acc63                      // 
v_accvgpr_read_b32 v16, acc95                      // 
v_accvgpr_read_b32 v20, acc127                     // 
v_accvgpr_read_b32 v24, acc159                     // 
v_accvgpr_read_b32 v28, acc191                     // 
v_accvgpr_read_b32 v32, acc223                     // 
v_accvgpr_read_b32 v36, acc255                     // 
s_nop 1                                            // v_accvgpr read vgpr after write vgpr: 2 wait states
s_mov_b32 s54, 1                                   // which thread need to shfit in this block
_v_cmpx_eq_u32 s[54:55], v7, s54                   // is thread in edge glvw region
s_nop 3                                            // wait for exec mask
v_accvgpr_write_b32 acc28, v8                      // 
v_accvgpr_write_b32 acc60, v12                     // 
v_accvgpr_write_b32 acc92, v16                     // 
v_accvgpr_write_b32 acc124, v20                    // 
v_accvgpr_write_b32 acc156, v24                    // 
v_accvgpr_write_b32 acc188, v28                    // 
v_accvgpr_write_b32 acc220, v32                    // 
v_accvgpr_write_b32 acc252, v36                    // 
s_mov_b64 s[54:55], 0xFFFFFFFFFFFFFFFF             // to restore all threads active
s_or_saveexec_b64 vcc, s[54:55]                    // all threads active
s_nop 3                                            // wait for exec mask
s_branch label_0106                                // done

/******************************************/
/* shift d0 shift=14 glvwblk=0            */
/******************************************/
label_0097:
v_and_b32 v6, 63, v[vgprSerial]                    // permute register between threads
v_lshlrev_b32 v6, 0x2, v6                          // permute register between threads
v_lshrrev_b32 v0, 5, v[vgprSerial]                 // v0 = v[vgprSerial] / 32
v_and_b32 v7, 1, v0                                // v7 = v0 % 2
v_accvgpr_read_b32 v8, acc2                        // 
v_accvgpr_read_b32 v12, acc34                      // 
v_accvgpr_read_b32 v16, acc66                      // 
v_accvgpr_read_b32 v20, acc98                      // 
v_accvgpr_read_b32 v24, acc130                     // 
v_accvgpr_read_b32 v28, acc162                     // 
v_accvgpr_read_b32 v32, acc194                     // 
v_accvgpr_read_b32 v36, acc226                     // 
v_accvgpr_read_b32 v9, acc3                        // 
v_accvgpr_read_b32 v13, acc35                      // 
v_accvgpr_read_b32 v17, acc67                      // 
v_accvgpr_read_b32 v21, acc99                      // 
v_accvgpr_read_b32 v25, acc131                     // 
v_accvgpr_read_b32 v29, acc163                     // 
v_accvgpr_read_b32 v33, acc195                     // 
v_accvgpr_read_b32 v37, acc227                     // 
v_accvgpr_read_b32 v10, acc0                       // 
v_accvgpr_read_b32 v14, acc32                      // 
v_accvgpr_read_b32 v18, acc64                      // 
v_accvgpr_read_b32 v22, acc96                      // 
v_accvgpr_read_b32 v26, acc128                     // 
v_accvgpr_read_b32 v30, acc160                     // 
v_accvgpr_read_b32 v34, acc192                     // 
v_accvgpr_read_b32 v38, acc224                     // 
v_accvgpr_read_b32 v11, acc1                       // 
v_accvgpr_read_b32 v15, acc33                      // 
v_accvgpr_read_b32 v19, acc65                      // 
v_accvgpr_read_b32 v23, acc97                      // 
v_accvgpr_read_b32 v27, acc129                     // 
v_accvgpr_read_b32 v31, acc161                     // 
v_accvgpr_read_b32 v35, acc193                     // 
v_accvgpr_read_b32 v39, acc225                     // 
s_nop 1                                            // v_accvgpr read vgpr after write vgpr: 2 wait states
ds_bpermute_b32 v10, v6, v10, offset:128           // permute edge values
ds_bpermute_b32 v14, v6, v14, offset:128           // permute edge values
	;; [unrolled: 1-line block ×16, first 2 shown]
s_waitcnt lgkmcnt(0)                               // wait for swizzle operation
s_mov_b32 s54, 0                                   // which thread need to shfit in this block
_v_cmpx_eq_u32 s[54:55], v7, s54                   // is thread in edge glvw region
s_nop 3                                            // wait for exec mask
v_accvgpr_write_b32 acc0, v8                       // 
v_accvgpr_write_b32 acc32, v12                     // 
v_accvgpr_write_b32 acc64, v16                     // 
v_accvgpr_write_b32 acc96, v20                     // 
v_accvgpr_write_b32 acc128, v24                    // 
v_accvgpr_write_b32 acc160, v28                    // 
v_accvgpr_write_b32 acc192, v32                    // 
v_accvgpr_write_b32 acc224, v36                    // 
v_accvgpr_write_b32 acc1, v9                       // 
v_accvgpr_write_b32 acc33, v13                     // 
v_accvgpr_write_b32 acc65, v17                     // 
v_accvgpr_write_b32 acc97, v21                     // 
v_accvgpr_write_b32 acc129, v25                    // 
v_accvgpr_write_b32 acc161, v29                    // 
v_accvgpr_write_b32 acc193, v33                    // 
v_accvgpr_write_b32 acc225, v37                    // 
v_accvgpr_write_b32 acc2, v10                      // 
v_accvgpr_write_b32 acc34, v14                     // 
v_accvgpr_write_b32 acc66, v18                     // 
v_accvgpr_write_b32 acc98, v22                     // 
v_accvgpr_write_b32 acc130, v26                    // 
v_accvgpr_write_b32 acc162, v30                    // 
v_accvgpr_write_b32 acc194, v34                    // 
v_accvgpr_write_b32 acc226, v38                    // 
v_accvgpr_write_b32 acc3, v11                      // 
v_accvgpr_write_b32 acc35, v15                     // 
v_accvgpr_write_b32 acc67, v19                     // 
v_accvgpr_write_b32 acc99, v23                     // 
v_accvgpr_write_b32 acc131, v27                    // 
v_accvgpr_write_b32 acc163, v31                    // 
v_accvgpr_write_b32 acc195, v35                    // 
v_accvgpr_write_b32 acc227, v39                    // 
s_mov_b64 s[54:55], 0xFFFFFFFFFFFFFFFF             // to restore all threads active
s_or_saveexec_b64 vcc, s[54:55]                    // all threads active
s_nop 3                                            // wait for exec mask
v_accvgpr_read_b32 v8, acc2                        // 
v_accvgpr_read_b32 v12, acc34                      // 
v_accvgpr_read_b32 v16, acc66                      // 
v_accvgpr_read_b32 v20, acc98                      // 
v_accvgpr_read_b32 v24, acc130                     // 
v_accvgpr_read_b32 v28, acc162                     // 
v_accvgpr_read_b32 v32, acc194                     // 
v_accvgpr_read_b32 v36, acc226                     // 
v_accvgpr_read_b32 v9, acc3                        // 
v_accvgpr_read_b32 v13, acc35                      // 
v_accvgpr_read_b32 v17, acc67                      // 
v_accvgpr_read_b32 v21, acc99                      // 
v_accvgpr_read_b32 v25, acc131                     // 
v_accvgpr_read_b32 v29, acc163                     // 
v_accvgpr_read_b32 v33, acc195                     // 
v_accvgpr_read_b32 v37, acc227                     // 
v_accvgpr_read_b32 v10, acc4                       // 
v_accvgpr_read_b32 v14, acc36                      // 
v_accvgpr_read_b32 v18, acc68                      // 
v_accvgpr_read_b32 v22, acc100                     // 
v_accvgpr_read_b32 v26, acc132                     // 
v_accvgpr_read_b32 v30, acc164                     // 
v_accvgpr_read_b32 v34, acc196                     // 
v_accvgpr_read_b32 v38, acc228                     // 
v_accvgpr_read_b32 v11, acc5                       // 
v_accvgpr_read_b32 v15, acc37                      // 
v_accvgpr_read_b32 v19, acc69                      // 
v_accvgpr_read_b32 v23, acc101                     // 
v_accvgpr_read_b32 v27, acc133                     // 
v_accvgpr_read_b32 v31, acc165                     // 
v_accvgpr_read_b32 v35, acc197                     // 
v_accvgpr_read_b32 v39, acc229                     // 
s_nop 1                                            // v_accvgpr read vgpr after write vgpr: 2 wait states
ds_bpermute_b32 v10, v6, v10, offset:128           // permute edge values
ds_bpermute_b32 v14, v6, v14, offset:128           // permute edge values
	;; [unrolled: 1-line block ×16, first 2 shown]
s_waitcnt lgkmcnt(0)                               // wait for swizzle operation
s_mov_b32 s54, 1                                   // which thread need to shfit in this block
_v_cmpx_eq_u32 s[54:55], v7, s54                   // is thread in edge glvw region
s_nop 3                                            // wait for exec mask
v_accvgpr_write_b32 acc0, v8                       // 
v_accvgpr_write_b32 acc32, v12                     // 
v_accvgpr_write_b32 acc64, v16                     // 
v_accvgpr_write_b32 acc96, v20                     // 
v_accvgpr_write_b32 acc128, v24                    // 
v_accvgpr_write_b32 acc160, v28                    // 
v_accvgpr_write_b32 acc192, v32                    // 
v_accvgpr_write_b32 acc224, v36                    // 
v_accvgpr_write_b32 acc1, v9                       // 
v_accvgpr_write_b32 acc33, v13                     // 
v_accvgpr_write_b32 acc65, v17                     // 
v_accvgpr_write_b32 acc97, v21                     // 
v_accvgpr_write_b32 acc129, v25                    // 
v_accvgpr_write_b32 acc161, v29                    // 
v_accvgpr_write_b32 acc193, v33                    // 
v_accvgpr_write_b32 acc225, v37                    // 
v_accvgpr_write_b32 acc2, v10                      // 
v_accvgpr_write_b32 acc34, v14                     // 
v_accvgpr_write_b32 acc66, v18                     // 
v_accvgpr_write_b32 acc98, v22                     // 
v_accvgpr_write_b32 acc130, v26                    // 
v_accvgpr_write_b32 acc162, v30                    // 
v_accvgpr_write_b32 acc194, v34                    // 
v_accvgpr_write_b32 acc226, v38                    // 
v_accvgpr_write_b32 acc3, v11                      // 
v_accvgpr_write_b32 acc35, v15                     // 
v_accvgpr_write_b32 acc67, v19                     // 
v_accvgpr_write_b32 acc99, v23                     // 
v_accvgpr_write_b32 acc131, v27                    // 
v_accvgpr_write_b32 acc163, v31                    // 
v_accvgpr_write_b32 acc195, v35                    // 
v_accvgpr_write_b32 acc227, v39                    // 
s_mov_b64 s[54:55], 0xFFFFFFFFFFFFFFFF             // to restore all threads active
s_or_saveexec_b64 vcc, s[54:55]                    // all threads active
s_nop 3                                            // wait for exec mask
v_accvgpr_read_b32 v8, acc6                        // 
v_accvgpr_read_b32 v12, acc38                      // 
v_accvgpr_read_b32 v16, acc70                      // 
v_accvgpr_read_b32 v20, acc102                     // 
v_accvgpr_read_b32 v24, acc134                     // 
v_accvgpr_read_b32 v28, acc166                     // 
v_accvgpr_read_b32 v32, acc198                     // 
v_accvgpr_read_b32 v36, acc230                     // 
v_accvgpr_read_b32 v9, acc7                        // 
v_accvgpr_read_b32 v13, acc39                      // 
v_accvgpr_read_b32 v17, acc71                      // 
v_accvgpr_read_b32 v21, acc103                     // 
v_accvgpr_read_b32 v25, acc135                     // 
v_accvgpr_read_b32 v29, acc167                     // 
v_accvgpr_read_b32 v33, acc199                     // 
v_accvgpr_read_b32 v37, acc231                     // 
v_accvgpr_read_b32 v10, acc4                       // 
v_accvgpr_read_b32 v14, acc36                      // 
v_accvgpr_read_b32 v18, acc68                      // 
v_accvgpr_read_b32 v22, acc100                     // 
v_accvgpr_read_b32 v26, acc132                     // 
v_accvgpr_read_b32 v30, acc164                     // 
v_accvgpr_read_b32 v34, acc196                     // 
v_accvgpr_read_b32 v38, acc228                     // 
v_accvgpr_read_b32 v11, acc5                       // 
v_accvgpr_read_b32 v15, acc37                      // 
v_accvgpr_read_b32 v19, acc69                      // 
v_accvgpr_read_b32 v23, acc101                     // 
v_accvgpr_read_b32 v27, acc133                     // 
v_accvgpr_read_b32 v31, acc165                     // 
v_accvgpr_read_b32 v35, acc197                     // 
v_accvgpr_read_b32 v39, acc229                     // 
s_nop 1                                            // v_accvgpr read vgpr after write vgpr: 2 wait states
ds_bpermute_b32 v10, v6, v10, offset:128           // permute edge values
ds_bpermute_b32 v14, v6, v14, offset:128           // permute edge values
	;; [unrolled: 1-line block ×16, first 2 shown]
s_waitcnt lgkmcnt(0)                               // wait for swizzle operation
s_mov_b32 s54, 0                                   // which thread need to shfit in this block
_v_cmpx_eq_u32 s[54:55], v7, s54                   // is thread in edge glvw region
s_nop 3                                            // wait for exec mask
v_accvgpr_write_b32 acc4, v8                       // 
v_accvgpr_write_b32 acc36, v12                     // 
v_accvgpr_write_b32 acc68, v16                     // 
v_accvgpr_write_b32 acc100, v20                    // 
v_accvgpr_write_b32 acc132, v24                    // 
v_accvgpr_write_b32 acc164, v28                    // 
v_accvgpr_write_b32 acc196, v32                    // 
v_accvgpr_write_b32 acc228, v36                    // 
v_accvgpr_write_b32 acc5, v9                       // 
v_accvgpr_write_b32 acc37, v13                     // 
v_accvgpr_write_b32 acc69, v17                     // 
v_accvgpr_write_b32 acc101, v21                    // 
v_accvgpr_write_b32 acc133, v25                    // 
v_accvgpr_write_b32 acc165, v29                    // 
v_accvgpr_write_b32 acc197, v33                    // 
v_accvgpr_write_b32 acc229, v37                    // 
v_accvgpr_write_b32 acc6, v10                      // 
v_accvgpr_write_b32 acc38, v14                     // 
v_accvgpr_write_b32 acc70, v18                     // 
v_accvgpr_write_b32 acc102, v22                    // 
v_accvgpr_write_b32 acc134, v26                    // 
v_accvgpr_write_b32 acc166, v30                    // 
v_accvgpr_write_b32 acc198, v34                    // 
v_accvgpr_write_b32 acc230, v38                    // 
v_accvgpr_write_b32 acc7, v11                      // 
v_accvgpr_write_b32 acc39, v15                     // 
v_accvgpr_write_b32 acc71, v19                     // 
v_accvgpr_write_b32 acc103, v23                    // 
v_accvgpr_write_b32 acc135, v27                    // 
v_accvgpr_write_b32 acc167, v31                    // 
v_accvgpr_write_b32 acc199, v35                    // 
v_accvgpr_write_b32 acc231, v39                    // 
s_mov_b64 s[54:55], 0xFFFFFFFFFFFFFFFF             // to restore all threads active
s_or_saveexec_b64 vcc, s[54:55]                    // all threads active
s_nop 3                                            // wait for exec mask
v_accvgpr_read_b32 v8, acc6                        // 
v_accvgpr_read_b32 v12, acc38                      // 
v_accvgpr_read_b32 v16, acc70                      // 
v_accvgpr_read_b32 v20, acc102                     // 
v_accvgpr_read_b32 v24, acc134                     // 
v_accvgpr_read_b32 v28, acc166                     // 
v_accvgpr_read_b32 v32, acc198                     // 
v_accvgpr_read_b32 v36, acc230                     // 
v_accvgpr_read_b32 v9, acc7                        // 
v_accvgpr_read_b32 v13, acc39                      // 
v_accvgpr_read_b32 v17, acc71                      // 
v_accvgpr_read_b32 v21, acc103                     // 
v_accvgpr_read_b32 v25, acc135                     // 
v_accvgpr_read_b32 v29, acc167                     // 
v_accvgpr_read_b32 v33, acc199                     // 
v_accvgpr_read_b32 v37, acc231                     // 
s_nop 1                                            // v_accvgpr read vgpr after write vgpr: 2 wait states
s_mov_b32 s54, 1                                   // which thread need to shfit in this block
_v_cmpx_eq_u32 s[54:55], v7, s54                   // is thread in edge glvw region
s_nop 3                                            // wait for exec mask
v_accvgpr_write_b32 acc4, v8                       // 
v_accvgpr_write_b32 acc36, v12                     // 
v_accvgpr_write_b32 acc68, v16                     // 
v_accvgpr_write_b32 acc100, v20                    // 
v_accvgpr_write_b32 acc132, v24                    // 
v_accvgpr_write_b32 acc164, v28                    // 
v_accvgpr_write_b32 acc196, v32                    // 
v_accvgpr_write_b32 acc228, v36                    // 
v_accvgpr_write_b32 acc5, v9                       // 
v_accvgpr_write_b32 acc37, v13                     // 
v_accvgpr_write_b32 acc69, v17                     // 
v_accvgpr_write_b32 acc101, v21                    // 
v_accvgpr_write_b32 acc133, v25                    // 
v_accvgpr_write_b32 acc165, v29                    // 
v_accvgpr_write_b32 acc197, v33                    // 
v_accvgpr_write_b32 acc229, v37                    // 
s_mov_b64 s[54:55], 0xFFFFFFFFFFFFFFFF             // to restore all threads active
s_or_saveexec_b64 vcc, s[54:55]                    // all threads active
s_nop 3                                            // wait for exec mask
s_branch label_0106                                // done

/******************************************/
/* shift d0 shift=14 glvwblk=1            */
/******************************************/
label_0098:
v_and_b32 v6, 63, v[vgprSerial]                    // permute register between threads
v_lshlrev_b32 v6, 0x2, v6                          // permute register between threads
v_lshrrev_b32 v0, 5, v[vgprSerial]                 // v0 = v[vgprSerial] / 32
v_and_b32 v7, 1, v0                                // v7 = v0 % 2
v_accvgpr_read_b32 v8, acc10                       // 
v_accvgpr_read_b32 v12, acc42                      // 
v_accvgpr_read_b32 v16, acc74                      // 
v_accvgpr_read_b32 v20, acc106                     // 
v_accvgpr_read_b32 v24, acc138                     // 
v_accvgpr_read_b32 v28, acc170                     // 
v_accvgpr_read_b32 v32, acc202                     // 
v_accvgpr_read_b32 v36, acc234                     // 
v_accvgpr_read_b32 v9, acc11                       // 
v_accvgpr_read_b32 v13, acc43                      // 
v_accvgpr_read_b32 v17, acc75                      // 
v_accvgpr_read_b32 v21, acc107                     // 
v_accvgpr_read_b32 v25, acc139                     // 
v_accvgpr_read_b32 v29, acc171                     // 
v_accvgpr_read_b32 v33, acc203                     // 
v_accvgpr_read_b32 v37, acc235                     // 
v_accvgpr_read_b32 v10, acc8                       // 
v_accvgpr_read_b32 v14, acc40                      // 
v_accvgpr_read_b32 v18, acc72                      // 
v_accvgpr_read_b32 v22, acc104                     // 
v_accvgpr_read_b32 v26, acc136                     // 
v_accvgpr_read_b32 v30, acc168                     // 
v_accvgpr_read_b32 v34, acc200                     // 
v_accvgpr_read_b32 v38, acc232                     // 
v_accvgpr_read_b32 v11, acc9                       // 
v_accvgpr_read_b32 v15, acc41                      // 
v_accvgpr_read_b32 v19, acc73                      // 
v_accvgpr_read_b32 v23, acc105                     // 
v_accvgpr_read_b32 v27, acc137                     // 
v_accvgpr_read_b32 v31, acc169                     // 
v_accvgpr_read_b32 v35, acc201                     // 
v_accvgpr_read_b32 v39, acc233                     // 
s_nop 1                                            // v_accvgpr read vgpr after write vgpr: 2 wait states
ds_bpermute_b32 v10, v6, v10, offset:128           // permute edge values
ds_bpermute_b32 v14, v6, v14, offset:128           // permute edge values
	;; [unrolled: 1-line block ×16, first 2 shown]
s_waitcnt lgkmcnt(0)                               // wait for swizzle operation
s_mov_b32 s54, 0                                   // which thread need to shfit in this block
_v_cmpx_eq_u32 s[54:55], v7, s54                   // is thread in edge glvw region
s_nop 3                                            // wait for exec mask
v_accvgpr_write_b32 acc8, v8                       // 
v_accvgpr_write_b32 acc40, v12                     // 
v_accvgpr_write_b32 acc72, v16                     // 
v_accvgpr_write_b32 acc104, v20                    // 
v_accvgpr_write_b32 acc136, v24                    // 
v_accvgpr_write_b32 acc168, v28                    // 
v_accvgpr_write_b32 acc200, v32                    // 
v_accvgpr_write_b32 acc232, v36                    // 
v_accvgpr_write_b32 acc9, v9                       // 
v_accvgpr_write_b32 acc41, v13                     // 
v_accvgpr_write_b32 acc73, v17                     // 
v_accvgpr_write_b32 acc105, v21                    // 
v_accvgpr_write_b32 acc137, v25                    // 
v_accvgpr_write_b32 acc169, v29                    // 
v_accvgpr_write_b32 acc201, v33                    // 
v_accvgpr_write_b32 acc233, v37                    // 
v_accvgpr_write_b32 acc10, v10                     // 
v_accvgpr_write_b32 acc42, v14                     // 
v_accvgpr_write_b32 acc74, v18                     // 
v_accvgpr_write_b32 acc106, v22                    // 
v_accvgpr_write_b32 acc138, v26                    // 
v_accvgpr_write_b32 acc170, v30                    // 
v_accvgpr_write_b32 acc202, v34                    // 
v_accvgpr_write_b32 acc234, v38                    // 
v_accvgpr_write_b32 acc11, v11                     // 
v_accvgpr_write_b32 acc43, v15                     // 
v_accvgpr_write_b32 acc75, v19                     // 
v_accvgpr_write_b32 acc107, v23                    // 
v_accvgpr_write_b32 acc139, v27                    // 
v_accvgpr_write_b32 acc171, v31                    // 
v_accvgpr_write_b32 acc203, v35                    // 
v_accvgpr_write_b32 acc235, v39                    // 
s_mov_b64 s[54:55], 0xFFFFFFFFFFFFFFFF             // to restore all threads active
s_or_saveexec_b64 vcc, s[54:55]                    // all threads active
s_nop 3                                            // wait for exec mask
v_accvgpr_read_b32 v8, acc10                       // 
v_accvgpr_read_b32 v12, acc42                      // 
v_accvgpr_read_b32 v16, acc74                      // 
v_accvgpr_read_b32 v20, acc106                     // 
v_accvgpr_read_b32 v24, acc138                     // 
v_accvgpr_read_b32 v28, acc170                     // 
v_accvgpr_read_b32 v32, acc202                     // 
v_accvgpr_read_b32 v36, acc234                     // 
v_accvgpr_read_b32 v9, acc11                       // 
v_accvgpr_read_b32 v13, acc43                      // 
v_accvgpr_read_b32 v17, acc75                      // 
v_accvgpr_read_b32 v21, acc107                     // 
v_accvgpr_read_b32 v25, acc139                     // 
v_accvgpr_read_b32 v29, acc171                     // 
v_accvgpr_read_b32 v33, acc203                     // 
v_accvgpr_read_b32 v37, acc235                     // 
v_accvgpr_read_b32 v10, acc12                      // 
v_accvgpr_read_b32 v14, acc44                      // 
v_accvgpr_read_b32 v18, acc76                      // 
v_accvgpr_read_b32 v22, acc108                     // 
v_accvgpr_read_b32 v26, acc140                     // 
v_accvgpr_read_b32 v30, acc172                     // 
v_accvgpr_read_b32 v34, acc204                     // 
v_accvgpr_read_b32 v38, acc236                     // 
v_accvgpr_read_b32 v11, acc13                      // 
v_accvgpr_read_b32 v15, acc45                      // 
v_accvgpr_read_b32 v19, acc77                      // 
v_accvgpr_read_b32 v23, acc109                     // 
v_accvgpr_read_b32 v27, acc141                     // 
v_accvgpr_read_b32 v31, acc173                     // 
v_accvgpr_read_b32 v35, acc205                     // 
v_accvgpr_read_b32 v39, acc237                     // 
s_nop 1                                            // v_accvgpr read vgpr after write vgpr: 2 wait states
ds_bpermute_b32 v10, v6, v10, offset:128           // permute edge values
ds_bpermute_b32 v14, v6, v14, offset:128           // permute edge values
	;; [unrolled: 1-line block ×16, first 2 shown]
s_waitcnt lgkmcnt(0)                               // wait for swizzle operation
s_mov_b32 s54, 1                                   // which thread need to shfit in this block
_v_cmpx_eq_u32 s[54:55], v7, s54                   // is thread in edge glvw region
s_nop 3                                            // wait for exec mask
v_accvgpr_write_b32 acc8, v8                       // 
v_accvgpr_write_b32 acc40, v12                     // 
v_accvgpr_write_b32 acc72, v16                     // 
v_accvgpr_write_b32 acc104, v20                    // 
v_accvgpr_write_b32 acc136, v24                    // 
v_accvgpr_write_b32 acc168, v28                    // 
v_accvgpr_write_b32 acc200, v32                    // 
v_accvgpr_write_b32 acc232, v36                    // 
v_accvgpr_write_b32 acc9, v9                       // 
v_accvgpr_write_b32 acc41, v13                     // 
v_accvgpr_write_b32 acc73, v17                     // 
v_accvgpr_write_b32 acc105, v21                    // 
v_accvgpr_write_b32 acc137, v25                    // 
v_accvgpr_write_b32 acc169, v29                    // 
v_accvgpr_write_b32 acc201, v33                    // 
v_accvgpr_write_b32 acc233, v37                    // 
v_accvgpr_write_b32 acc10, v10                     // 
v_accvgpr_write_b32 acc42, v14                     // 
v_accvgpr_write_b32 acc74, v18                     // 
v_accvgpr_write_b32 acc106, v22                    // 
v_accvgpr_write_b32 acc138, v26                    // 
v_accvgpr_write_b32 acc170, v30                    // 
v_accvgpr_write_b32 acc202, v34                    // 
v_accvgpr_write_b32 acc234, v38                    // 
v_accvgpr_write_b32 acc11, v11                     // 
v_accvgpr_write_b32 acc43, v15                     // 
v_accvgpr_write_b32 acc75, v19                     // 
v_accvgpr_write_b32 acc107, v23                    // 
v_accvgpr_write_b32 acc139, v27                    // 
v_accvgpr_write_b32 acc171, v31                    // 
v_accvgpr_write_b32 acc203, v35                    // 
v_accvgpr_write_b32 acc235, v39                    // 
s_mov_b64 s[54:55], 0xFFFFFFFFFFFFFFFF             // to restore all threads active
s_or_saveexec_b64 vcc, s[54:55]                    // all threads active
s_nop 3                                            // wait for exec mask
v_accvgpr_read_b32 v8, acc14                       // 
v_accvgpr_read_b32 v12, acc46                      // 
v_accvgpr_read_b32 v16, acc78                      // 
v_accvgpr_read_b32 v20, acc110                     // 
v_accvgpr_read_b32 v24, acc142                     // 
v_accvgpr_read_b32 v28, acc174                     // 
v_accvgpr_read_b32 v32, acc206                     // 
v_accvgpr_read_b32 v36, acc238                     // 
v_accvgpr_read_b32 v9, acc15                       // 
v_accvgpr_read_b32 v13, acc47                      // 
v_accvgpr_read_b32 v17, acc79                      // 
v_accvgpr_read_b32 v21, acc111                     // 
v_accvgpr_read_b32 v25, acc143                     // 
v_accvgpr_read_b32 v29, acc175                     // 
v_accvgpr_read_b32 v33, acc207                     // 
v_accvgpr_read_b32 v37, acc239                     // 
v_accvgpr_read_b32 v10, acc12                      // 
v_accvgpr_read_b32 v14, acc44                      // 
v_accvgpr_read_b32 v18, acc76                      // 
v_accvgpr_read_b32 v22, acc108                     // 
v_accvgpr_read_b32 v26, acc140                     // 
v_accvgpr_read_b32 v30, acc172                     // 
v_accvgpr_read_b32 v34, acc204                     // 
v_accvgpr_read_b32 v38, acc236                     // 
v_accvgpr_read_b32 v11, acc13                      // 
v_accvgpr_read_b32 v15, acc45                      // 
v_accvgpr_read_b32 v19, acc77                      // 
v_accvgpr_read_b32 v23, acc109                     // 
v_accvgpr_read_b32 v27, acc141                     // 
v_accvgpr_read_b32 v31, acc173                     // 
v_accvgpr_read_b32 v35, acc205                     // 
v_accvgpr_read_b32 v39, acc237                     // 
s_nop 1                                            // v_accvgpr read vgpr after write vgpr: 2 wait states
ds_bpermute_b32 v10, v6, v10, offset:128           // permute edge values
ds_bpermute_b32 v14, v6, v14, offset:128           // permute edge values
	;; [unrolled: 1-line block ×16, first 2 shown]
s_waitcnt lgkmcnt(0)                               // wait for swizzle operation
s_mov_b32 s54, 0                                   // which thread need to shfit in this block
_v_cmpx_eq_u32 s[54:55], v7, s54                   // is thread in edge glvw region
s_nop 3                                            // wait for exec mask
v_accvgpr_write_b32 acc12, v8                      // 
v_accvgpr_write_b32 acc44, v12                     // 
v_accvgpr_write_b32 acc76, v16                     // 
v_accvgpr_write_b32 acc108, v20                    // 
v_accvgpr_write_b32 acc140, v24                    // 
v_accvgpr_write_b32 acc172, v28                    // 
v_accvgpr_write_b32 acc204, v32                    // 
v_accvgpr_write_b32 acc236, v36                    // 
v_accvgpr_write_b32 acc13, v9                      // 
v_accvgpr_write_b32 acc45, v13                     // 
v_accvgpr_write_b32 acc77, v17                     // 
v_accvgpr_write_b32 acc109, v21                    // 
v_accvgpr_write_b32 acc141, v25                    // 
v_accvgpr_write_b32 acc173, v29                    // 
v_accvgpr_write_b32 acc205, v33                    // 
v_accvgpr_write_b32 acc237, v37                    // 
v_accvgpr_write_b32 acc14, v10                     // 
v_accvgpr_write_b32 acc46, v14                     // 
v_accvgpr_write_b32 acc78, v18                     // 
v_accvgpr_write_b32 acc110, v22                    // 
v_accvgpr_write_b32 acc142, v26                    // 
v_accvgpr_write_b32 acc174, v30                    // 
v_accvgpr_write_b32 acc206, v34                    // 
v_accvgpr_write_b32 acc238, v38                    // 
v_accvgpr_write_b32 acc15, v11                     // 
v_accvgpr_write_b32 acc47, v15                     // 
v_accvgpr_write_b32 acc79, v19                     // 
v_accvgpr_write_b32 acc111, v23                    // 
v_accvgpr_write_b32 acc143, v27                    // 
v_accvgpr_write_b32 acc175, v31                    // 
v_accvgpr_write_b32 acc207, v35                    // 
v_accvgpr_write_b32 acc239, v39                    // 
s_mov_b64 s[54:55], 0xFFFFFFFFFFFFFFFF             // to restore all threads active
s_or_saveexec_b64 vcc, s[54:55]                    // all threads active
s_nop 3                                            // wait for exec mask
v_accvgpr_read_b32 v8, acc14                       // 
v_accvgpr_read_b32 v12, acc46                      // 
v_accvgpr_read_b32 v16, acc78                      // 
v_accvgpr_read_b32 v20, acc110                     // 
v_accvgpr_read_b32 v24, acc142                     // 
v_accvgpr_read_b32 v28, acc174                     // 
v_accvgpr_read_b32 v32, acc206                     // 
v_accvgpr_read_b32 v36, acc238                     // 
v_accvgpr_read_b32 v9, acc15                       // 
v_accvgpr_read_b32 v13, acc47                      // 
v_accvgpr_read_b32 v17, acc79                      // 
v_accvgpr_read_b32 v21, acc111                     // 
v_accvgpr_read_b32 v25, acc143                     // 
v_accvgpr_read_b32 v29, acc175                     // 
v_accvgpr_read_b32 v33, acc207                     // 
v_accvgpr_read_b32 v37, acc239                     // 
s_nop 1                                            // v_accvgpr read vgpr after write vgpr: 2 wait states
s_mov_b32 s54, 1                                   // which thread need to shfit in this block
_v_cmpx_eq_u32 s[54:55], v7, s54                   // is thread in edge glvw region
s_nop 3                                            // wait for exec mask
v_accvgpr_write_b32 acc12, v8                      // 
v_accvgpr_write_b32 acc44, v12                     // 
v_accvgpr_write_b32 acc76, v16                     // 
v_accvgpr_write_b32 acc108, v20                    // 
v_accvgpr_write_b32 acc140, v24                    // 
v_accvgpr_write_b32 acc172, v28                    // 
v_accvgpr_write_b32 acc204, v32                    // 
v_accvgpr_write_b32 acc236, v36                    // 
v_accvgpr_write_b32 acc13, v9                      // 
v_accvgpr_write_b32 acc45, v13                     // 
v_accvgpr_write_b32 acc77, v17                     // 
v_accvgpr_write_b32 acc109, v21                    // 
v_accvgpr_write_b32 acc141, v25                    // 
v_accvgpr_write_b32 acc173, v29                    // 
v_accvgpr_write_b32 acc205, v33                    // 
v_accvgpr_write_b32 acc237, v37                    // 
s_mov_b64 s[54:55], 0xFFFFFFFFFFFFFFFF             // to restore all threads active
s_or_saveexec_b64 vcc, s[54:55]                    // all threads active
s_nop 3                                            // wait for exec mask
s_branch label_0106                                // done

/******************************************/
/* shift d0 shift=14 glvwblk=0            */
/******************************************/
label_0099:
v_and_b32 v6, 63, v[vgprSerial]                    // permute register between threads
v_lshlrev_b32 v6, 0x2, v6                          // permute register between threads
v_lshrrev_b32 v0, 5, v[vgprSerial]                 // v0 = v[vgprSerial] / 32
v_and_b32 v7, 1, v0                                // v7 = v0 % 2
v_accvgpr_read_b32 v8, acc18                       // 
v_accvgpr_read_b32 v12, acc50                      // 
v_accvgpr_read_b32 v16, acc82                      // 
v_accvgpr_read_b32 v20, acc114                     // 
v_accvgpr_read_b32 v24, acc146                     // 
v_accvgpr_read_b32 v28, acc178                     // 
v_accvgpr_read_b32 v32, acc210                     // 
v_accvgpr_read_b32 v36, acc242                     // 
v_accvgpr_read_b32 v9, acc19                       // 
v_accvgpr_read_b32 v13, acc51                      // 
v_accvgpr_read_b32 v17, acc83                      // 
v_accvgpr_read_b32 v21, acc115                     // 
v_accvgpr_read_b32 v25, acc147                     // 
v_accvgpr_read_b32 v29, acc179                     // 
v_accvgpr_read_b32 v33, acc211                     // 
v_accvgpr_read_b32 v37, acc243                     // 
v_accvgpr_read_b32 v10, acc16                      // 
v_accvgpr_read_b32 v14, acc48                      // 
v_accvgpr_read_b32 v18, acc80                      // 
v_accvgpr_read_b32 v22, acc112                     // 
v_accvgpr_read_b32 v26, acc144                     // 
v_accvgpr_read_b32 v30, acc176                     // 
v_accvgpr_read_b32 v34, acc208                     // 
v_accvgpr_read_b32 v38, acc240                     // 
v_accvgpr_read_b32 v11, acc17                      // 
v_accvgpr_read_b32 v15, acc49                      // 
v_accvgpr_read_b32 v19, acc81                      // 
v_accvgpr_read_b32 v23, acc113                     // 
v_accvgpr_read_b32 v27, acc145                     // 
v_accvgpr_read_b32 v31, acc177                     // 
v_accvgpr_read_b32 v35, acc209                     // 
v_accvgpr_read_b32 v39, acc241                     // 
s_nop 1                                            // v_accvgpr read vgpr after write vgpr: 2 wait states
ds_bpermute_b32 v10, v6, v10, offset:128           // permute edge values
ds_bpermute_b32 v14, v6, v14, offset:128           // permute edge values
	;; [unrolled: 1-line block ×16, first 2 shown]
s_waitcnt lgkmcnt(0)                               // wait for swizzle operation
s_mov_b32 s54, 0                                   // which thread need to shfit in this block
_v_cmpx_eq_u32 s[54:55], v7, s54                   // is thread in edge glvw region
s_nop 3                                            // wait for exec mask
v_accvgpr_write_b32 acc16, v8                      // 
v_accvgpr_write_b32 acc48, v12                     // 
v_accvgpr_write_b32 acc80, v16                     // 
v_accvgpr_write_b32 acc112, v20                    // 
v_accvgpr_write_b32 acc144, v24                    // 
v_accvgpr_write_b32 acc176, v28                    // 
v_accvgpr_write_b32 acc208, v32                    // 
v_accvgpr_write_b32 acc240, v36                    // 
v_accvgpr_write_b32 acc17, v9                      // 
v_accvgpr_write_b32 acc49, v13                     // 
v_accvgpr_write_b32 acc81, v17                     // 
v_accvgpr_write_b32 acc113, v21                    // 
v_accvgpr_write_b32 acc145, v25                    // 
v_accvgpr_write_b32 acc177, v29                    // 
v_accvgpr_write_b32 acc209, v33                    // 
v_accvgpr_write_b32 acc241, v37                    // 
v_accvgpr_write_b32 acc18, v10                     // 
v_accvgpr_write_b32 acc50, v14                     // 
v_accvgpr_write_b32 acc82, v18                     // 
v_accvgpr_write_b32 acc114, v22                    // 
v_accvgpr_write_b32 acc146, v26                    // 
v_accvgpr_write_b32 acc178, v30                    // 
v_accvgpr_write_b32 acc210, v34                    // 
v_accvgpr_write_b32 acc242, v38                    // 
v_accvgpr_write_b32 acc19, v11                     // 
v_accvgpr_write_b32 acc51, v15                     // 
v_accvgpr_write_b32 acc83, v19                     // 
v_accvgpr_write_b32 acc115, v23                    // 
v_accvgpr_write_b32 acc147, v27                    // 
v_accvgpr_write_b32 acc179, v31                    // 
v_accvgpr_write_b32 acc211, v35                    // 
v_accvgpr_write_b32 acc243, v39                    // 
s_mov_b64 s[54:55], 0xFFFFFFFFFFFFFFFF             // to restore all threads active
s_or_saveexec_b64 vcc, s[54:55]                    // all threads active
s_nop 3                                            // wait for exec mask
v_accvgpr_read_b32 v8, acc18                       // 
v_accvgpr_read_b32 v12, acc50                      // 
v_accvgpr_read_b32 v16, acc82                      // 
v_accvgpr_read_b32 v20, acc114                     // 
v_accvgpr_read_b32 v24, acc146                     // 
v_accvgpr_read_b32 v28, acc178                     // 
v_accvgpr_read_b32 v32, acc210                     // 
v_accvgpr_read_b32 v36, acc242                     // 
v_accvgpr_read_b32 v9, acc19                       // 
v_accvgpr_read_b32 v13, acc51                      // 
v_accvgpr_read_b32 v17, acc83                      // 
v_accvgpr_read_b32 v21, acc115                     // 
v_accvgpr_read_b32 v25, acc147                     // 
v_accvgpr_read_b32 v29, acc179                     // 
v_accvgpr_read_b32 v33, acc211                     // 
v_accvgpr_read_b32 v37, acc243                     // 
v_accvgpr_read_b32 v10, acc20                      // 
v_accvgpr_read_b32 v14, acc52                      // 
v_accvgpr_read_b32 v18, acc84                      // 
v_accvgpr_read_b32 v22, acc116                     // 
v_accvgpr_read_b32 v26, acc148                     // 
v_accvgpr_read_b32 v30, acc180                     // 
v_accvgpr_read_b32 v34, acc212                     // 
v_accvgpr_read_b32 v38, acc244                     // 
v_accvgpr_read_b32 v11, acc21                      // 
v_accvgpr_read_b32 v15, acc53                      // 
v_accvgpr_read_b32 v19, acc85                      // 
v_accvgpr_read_b32 v23, acc117                     // 
v_accvgpr_read_b32 v27, acc149                     // 
v_accvgpr_read_b32 v31, acc181                     // 
v_accvgpr_read_b32 v35, acc213                     // 
v_accvgpr_read_b32 v39, acc245                     // 
s_nop 1                                            // v_accvgpr read vgpr after write vgpr: 2 wait states
ds_bpermute_b32 v10, v6, v10, offset:128           // permute edge values
ds_bpermute_b32 v14, v6, v14, offset:128           // permute edge values
	;; [unrolled: 1-line block ×16, first 2 shown]
s_waitcnt lgkmcnt(0)                               // wait for swizzle operation
s_mov_b32 s54, 1                                   // which thread need to shfit in this block
_v_cmpx_eq_u32 s[54:55], v7, s54                   // is thread in edge glvw region
s_nop 3                                            // wait for exec mask
v_accvgpr_write_b32 acc16, v8                      // 
v_accvgpr_write_b32 acc48, v12                     // 
v_accvgpr_write_b32 acc80, v16                     // 
v_accvgpr_write_b32 acc112, v20                    // 
v_accvgpr_write_b32 acc144, v24                    // 
v_accvgpr_write_b32 acc176, v28                    // 
v_accvgpr_write_b32 acc208, v32                    // 
v_accvgpr_write_b32 acc240, v36                    // 
v_accvgpr_write_b32 acc17, v9                      // 
v_accvgpr_write_b32 acc49, v13                     // 
v_accvgpr_write_b32 acc81, v17                     // 
v_accvgpr_write_b32 acc113, v21                    // 
v_accvgpr_write_b32 acc145, v25                    // 
v_accvgpr_write_b32 acc177, v29                    // 
v_accvgpr_write_b32 acc209, v33                    // 
v_accvgpr_write_b32 acc241, v37                    // 
v_accvgpr_write_b32 acc18, v10                     // 
v_accvgpr_write_b32 acc50, v14                     // 
v_accvgpr_write_b32 acc82, v18                     // 
v_accvgpr_write_b32 acc114, v22                    // 
v_accvgpr_write_b32 acc146, v26                    // 
v_accvgpr_write_b32 acc178, v30                    // 
v_accvgpr_write_b32 acc210, v34                    // 
v_accvgpr_write_b32 acc242, v38                    // 
v_accvgpr_write_b32 acc19, v11                     // 
v_accvgpr_write_b32 acc51, v15                     // 
v_accvgpr_write_b32 acc83, v19                     // 
v_accvgpr_write_b32 acc115, v23                    // 
v_accvgpr_write_b32 acc147, v27                    // 
v_accvgpr_write_b32 acc179, v31                    // 
v_accvgpr_write_b32 acc211, v35                    // 
v_accvgpr_write_b32 acc243, v39                    // 
s_mov_b64 s[54:55], 0xFFFFFFFFFFFFFFFF             // to restore all threads active
s_or_saveexec_b64 vcc, s[54:55]                    // all threads active
s_nop 3                                            // wait for exec mask
v_accvgpr_read_b32 v8, acc22                       // 
v_accvgpr_read_b32 v12, acc54                      // 
v_accvgpr_read_b32 v16, acc86                      // 
v_accvgpr_read_b32 v20, acc118                     // 
v_accvgpr_read_b32 v24, acc150                     // 
v_accvgpr_read_b32 v28, acc182                     // 
v_accvgpr_read_b32 v32, acc214                     // 
v_accvgpr_read_b32 v36, acc246                     // 
v_accvgpr_read_b32 v9, acc23                       // 
v_accvgpr_read_b32 v13, acc55                      // 
v_accvgpr_read_b32 v17, acc87                      // 
v_accvgpr_read_b32 v21, acc119                     // 
v_accvgpr_read_b32 v25, acc151                     // 
v_accvgpr_read_b32 v29, acc183                     // 
v_accvgpr_read_b32 v33, acc215                     // 
v_accvgpr_read_b32 v37, acc247                     // 
v_accvgpr_read_b32 v10, acc20                      // 
v_accvgpr_read_b32 v14, acc52                      // 
v_accvgpr_read_b32 v18, acc84                      // 
v_accvgpr_read_b32 v22, acc116                     // 
v_accvgpr_read_b32 v26, acc148                     // 
v_accvgpr_read_b32 v30, acc180                     // 
v_accvgpr_read_b32 v34, acc212                     // 
v_accvgpr_read_b32 v38, acc244                     // 
v_accvgpr_read_b32 v11, acc21                      // 
v_accvgpr_read_b32 v15, acc53                      // 
v_accvgpr_read_b32 v19, acc85                      // 
v_accvgpr_read_b32 v23, acc117                     // 
v_accvgpr_read_b32 v27, acc149                     // 
v_accvgpr_read_b32 v31, acc181                     // 
v_accvgpr_read_b32 v35, acc213                     // 
v_accvgpr_read_b32 v39, acc245                     // 
s_nop 1                                            // v_accvgpr read vgpr after write vgpr: 2 wait states
ds_bpermute_b32 v10, v6, v10, offset:128           // permute edge values
ds_bpermute_b32 v14, v6, v14, offset:128           // permute edge values
	;; [unrolled: 1-line block ×16, first 2 shown]
s_waitcnt lgkmcnt(0)                               // wait for swizzle operation
s_mov_b32 s54, 0                                   // which thread need to shfit in this block
_v_cmpx_eq_u32 s[54:55], v7, s54                   // is thread in edge glvw region
s_nop 3                                            // wait for exec mask
v_accvgpr_write_b32 acc20, v8                      // 
v_accvgpr_write_b32 acc52, v12                     // 
v_accvgpr_write_b32 acc84, v16                     // 
v_accvgpr_write_b32 acc116, v20                    // 
v_accvgpr_write_b32 acc148, v24                    // 
v_accvgpr_write_b32 acc180, v28                    // 
v_accvgpr_write_b32 acc212, v32                    // 
v_accvgpr_write_b32 acc244, v36                    // 
v_accvgpr_write_b32 acc21, v9                      // 
v_accvgpr_write_b32 acc53, v13                     // 
v_accvgpr_write_b32 acc85, v17                     // 
v_accvgpr_write_b32 acc117, v21                    // 
v_accvgpr_write_b32 acc149, v25                    // 
v_accvgpr_write_b32 acc181, v29                    // 
v_accvgpr_write_b32 acc213, v33                    // 
v_accvgpr_write_b32 acc245, v37                    // 
v_accvgpr_write_b32 acc22, v10                     // 
v_accvgpr_write_b32 acc54, v14                     // 
v_accvgpr_write_b32 acc86, v18                     // 
v_accvgpr_write_b32 acc118, v22                    // 
v_accvgpr_write_b32 acc150, v26                    // 
v_accvgpr_write_b32 acc182, v30                    // 
v_accvgpr_write_b32 acc214, v34                    // 
v_accvgpr_write_b32 acc246, v38                    // 
v_accvgpr_write_b32 acc23, v11                     // 
v_accvgpr_write_b32 acc55, v15                     // 
v_accvgpr_write_b32 acc87, v19                     // 
v_accvgpr_write_b32 acc119, v23                    // 
v_accvgpr_write_b32 acc151, v27                    // 
v_accvgpr_write_b32 acc183, v31                    // 
v_accvgpr_write_b32 acc215, v35                    // 
v_accvgpr_write_b32 acc247, v39                    // 
s_mov_b64 s[54:55], 0xFFFFFFFFFFFFFFFF             // to restore all threads active
s_or_saveexec_b64 vcc, s[54:55]                    // all threads active
s_nop 3                                            // wait for exec mask
v_accvgpr_read_b32 v8, acc22                       // 
v_accvgpr_read_b32 v12, acc54                      // 
v_accvgpr_read_b32 v16, acc86                      // 
v_accvgpr_read_b32 v20, acc118                     // 
v_accvgpr_read_b32 v24, acc150                     // 
v_accvgpr_read_b32 v28, acc182                     // 
v_accvgpr_read_b32 v32, acc214                     // 
v_accvgpr_read_b32 v36, acc246                     // 
v_accvgpr_read_b32 v9, acc23                       // 
v_accvgpr_read_b32 v13, acc55                      // 
v_accvgpr_read_b32 v17, acc87                      // 
v_accvgpr_read_b32 v21, acc119                     // 
v_accvgpr_read_b32 v25, acc151                     // 
v_accvgpr_read_b32 v29, acc183                     // 
v_accvgpr_read_b32 v33, acc215                     // 
v_accvgpr_read_b32 v37, acc247                     // 
s_nop 1                                            // v_accvgpr read vgpr after write vgpr: 2 wait states
s_mov_b32 s54, 1                                   // which thread need to shfit in this block
_v_cmpx_eq_u32 s[54:55], v7, s54                   // is thread in edge glvw region
s_nop 3                                            // wait for exec mask
v_accvgpr_write_b32 acc20, v8                      // 
v_accvgpr_write_b32 acc52, v12                     // 
v_accvgpr_write_b32 acc84, v16                     // 
v_accvgpr_write_b32 acc116, v20                    // 
v_accvgpr_write_b32 acc148, v24                    // 
v_accvgpr_write_b32 acc180, v28                    // 
v_accvgpr_write_b32 acc212, v32                    // 
v_accvgpr_write_b32 acc244, v36                    // 
v_accvgpr_write_b32 acc21, v9                      // 
v_accvgpr_write_b32 acc53, v13                     // 
v_accvgpr_write_b32 acc85, v17                     // 
v_accvgpr_write_b32 acc117, v21                    // 
v_accvgpr_write_b32 acc149, v25                    // 
v_accvgpr_write_b32 acc181, v29                    // 
v_accvgpr_write_b32 acc213, v33                    // 
v_accvgpr_write_b32 acc245, v37                    // 
s_mov_b64 s[54:55], 0xFFFFFFFFFFFFFFFF             // to restore all threads active
s_or_saveexec_b64 vcc, s[54:55]                    // all threads active
s_nop 3                                            // wait for exec mask
s_branch label_0106                                // done

/******************************************/
/* shift d0 shift=14 glvwblk=1            */
/******************************************/
label_0100:
v_and_b32 v6, 63, v[vgprSerial]                    // permute register between threads
v_lshlrev_b32 v6, 0x2, v6                          // permute register between threads
v_lshrrev_b32 v0, 5, v[vgprSerial]                 // v0 = v[vgprSerial] / 32
v_and_b32 v7, 1, v0                                // v7 = v0 % 2
v_accvgpr_read_b32 v8, acc26                       // 
v_accvgpr_read_b32 v12, acc58                      // 
v_accvgpr_read_b32 v16, acc90                      // 
v_accvgpr_read_b32 v20, acc122                     // 
v_accvgpr_read_b32 v24, acc154                     // 
v_accvgpr_read_b32 v28, acc186                     // 
v_accvgpr_read_b32 v32, acc218                     // 
v_accvgpr_read_b32 v36, acc250                     // 
v_accvgpr_read_b32 v9, acc27                       // 
v_accvgpr_read_b32 v13, acc59                      // 
v_accvgpr_read_b32 v17, acc91                      // 
v_accvgpr_read_b32 v21, acc123                     // 
v_accvgpr_read_b32 v25, acc155                     // 
v_accvgpr_read_b32 v29, acc187                     // 
v_accvgpr_read_b32 v33, acc219                     // 
v_accvgpr_read_b32 v37, acc251                     // 
v_accvgpr_read_b32 v10, acc24                      // 
v_accvgpr_read_b32 v14, acc56                      // 
v_accvgpr_read_b32 v18, acc88                      // 
v_accvgpr_read_b32 v22, acc120                     // 
v_accvgpr_read_b32 v26, acc152                     // 
v_accvgpr_read_b32 v30, acc184                     // 
v_accvgpr_read_b32 v34, acc216                     // 
v_accvgpr_read_b32 v38, acc248                     // 
v_accvgpr_read_b32 v11, acc25                      // 
v_accvgpr_read_b32 v15, acc57                      // 
v_accvgpr_read_b32 v19, acc89                      // 
v_accvgpr_read_b32 v23, acc121                     // 
v_accvgpr_read_b32 v27, acc153                     // 
v_accvgpr_read_b32 v31, acc185                     // 
v_accvgpr_read_b32 v35, acc217                     // 
v_accvgpr_read_b32 v39, acc249                     // 
s_nop 1                                            // v_accvgpr read vgpr after write vgpr: 2 wait states
ds_bpermute_b32 v10, v6, v10, offset:128           // permute edge values
ds_bpermute_b32 v14, v6, v14, offset:128           // permute edge values
	;; [unrolled: 1-line block ×16, first 2 shown]
s_waitcnt lgkmcnt(0)                               // wait for swizzle operation
s_mov_b32 s54, 0                                   // which thread need to shfit in this block
_v_cmpx_eq_u32 s[54:55], v7, s54                   // is thread in edge glvw region
s_nop 3                                            // wait for exec mask
v_accvgpr_write_b32 acc24, v8                      // 
v_accvgpr_write_b32 acc56, v12                     // 
v_accvgpr_write_b32 acc88, v16                     // 
v_accvgpr_write_b32 acc120, v20                    // 
v_accvgpr_write_b32 acc152, v24                    // 
v_accvgpr_write_b32 acc184, v28                    // 
v_accvgpr_write_b32 acc216, v32                    // 
v_accvgpr_write_b32 acc248, v36                    // 
v_accvgpr_write_b32 acc25, v9                      // 
v_accvgpr_write_b32 acc57, v13                     // 
v_accvgpr_write_b32 acc89, v17                     // 
v_accvgpr_write_b32 acc121, v21                    // 
v_accvgpr_write_b32 acc153, v25                    // 
v_accvgpr_write_b32 acc185, v29                    // 
v_accvgpr_write_b32 acc217, v33                    // 
v_accvgpr_write_b32 acc249, v37                    // 
v_accvgpr_write_b32 acc26, v10                     // 
v_accvgpr_write_b32 acc58, v14                     // 
v_accvgpr_write_b32 acc90, v18                     // 
v_accvgpr_write_b32 acc122, v22                    // 
v_accvgpr_write_b32 acc154, v26                    // 
v_accvgpr_write_b32 acc186, v30                    // 
v_accvgpr_write_b32 acc218, v34                    // 
v_accvgpr_write_b32 acc250, v38                    // 
v_accvgpr_write_b32 acc27, v11                     // 
v_accvgpr_write_b32 acc59, v15                     // 
v_accvgpr_write_b32 acc91, v19                     // 
v_accvgpr_write_b32 acc123, v23                    // 
v_accvgpr_write_b32 acc155, v27                    // 
v_accvgpr_write_b32 acc187, v31                    // 
v_accvgpr_write_b32 acc219, v35                    // 
v_accvgpr_write_b32 acc251, v39                    // 
s_mov_b64 s[54:55], 0xFFFFFFFFFFFFFFFF             // to restore all threads active
s_or_saveexec_b64 vcc, s[54:55]                    // all threads active
s_nop 3                                            // wait for exec mask
v_accvgpr_read_b32 v8, acc26                       // 
v_accvgpr_read_b32 v12, acc58                      // 
v_accvgpr_read_b32 v16, acc90                      // 
v_accvgpr_read_b32 v20, acc122                     // 
v_accvgpr_read_b32 v24, acc154                     // 
v_accvgpr_read_b32 v28, acc186                     // 
v_accvgpr_read_b32 v32, acc218                     // 
v_accvgpr_read_b32 v36, acc250                     // 
v_accvgpr_read_b32 v9, acc27                       // 
v_accvgpr_read_b32 v13, acc59                      // 
v_accvgpr_read_b32 v17, acc91                      // 
v_accvgpr_read_b32 v21, acc123                     // 
v_accvgpr_read_b32 v25, acc155                     // 
v_accvgpr_read_b32 v29, acc187                     // 
v_accvgpr_read_b32 v33, acc219                     // 
v_accvgpr_read_b32 v37, acc251                     // 
v_accvgpr_read_b32 v10, acc28                      // 
v_accvgpr_read_b32 v14, acc60                      // 
v_accvgpr_read_b32 v18, acc92                      // 
v_accvgpr_read_b32 v22, acc124                     // 
v_accvgpr_read_b32 v26, acc156                     // 
v_accvgpr_read_b32 v30, acc188                     // 
v_accvgpr_read_b32 v34, acc220                     // 
v_accvgpr_read_b32 v38, acc252                     // 
v_accvgpr_read_b32 v11, acc29                      // 
v_accvgpr_read_b32 v15, acc61                      // 
v_accvgpr_read_b32 v19, acc93                      // 
v_accvgpr_read_b32 v23, acc125                     // 
v_accvgpr_read_b32 v27, acc157                     // 
v_accvgpr_read_b32 v31, acc189                     // 
v_accvgpr_read_b32 v35, acc221                     // 
v_accvgpr_read_b32 v39, acc253                     // 
s_nop 1                                            // v_accvgpr read vgpr after write vgpr: 2 wait states
ds_bpermute_b32 v10, v6, v10, offset:128           // permute edge values
ds_bpermute_b32 v14, v6, v14, offset:128           // permute edge values
	;; [unrolled: 1-line block ×16, first 2 shown]
s_waitcnt lgkmcnt(0)                               // wait for swizzle operation
s_mov_b32 s54, 1                                   // which thread need to shfit in this block
_v_cmpx_eq_u32 s[54:55], v7, s54                   // is thread in edge glvw region
s_nop 3                                            // wait for exec mask
v_accvgpr_write_b32 acc24, v8                      // 
v_accvgpr_write_b32 acc56, v12                     // 
v_accvgpr_write_b32 acc88, v16                     // 
v_accvgpr_write_b32 acc120, v20                    // 
v_accvgpr_write_b32 acc152, v24                    // 
v_accvgpr_write_b32 acc184, v28                    // 
v_accvgpr_write_b32 acc216, v32                    // 
v_accvgpr_write_b32 acc248, v36                    // 
v_accvgpr_write_b32 acc25, v9                      // 
v_accvgpr_write_b32 acc57, v13                     // 
v_accvgpr_write_b32 acc89, v17                     // 
v_accvgpr_write_b32 acc121, v21                    // 
v_accvgpr_write_b32 acc153, v25                    // 
v_accvgpr_write_b32 acc185, v29                    // 
v_accvgpr_write_b32 acc217, v33                    // 
v_accvgpr_write_b32 acc249, v37                    // 
v_accvgpr_write_b32 acc26, v10                     // 
v_accvgpr_write_b32 acc58, v14                     // 
v_accvgpr_write_b32 acc90, v18                     // 
v_accvgpr_write_b32 acc122, v22                    // 
v_accvgpr_write_b32 acc154, v26                    // 
v_accvgpr_write_b32 acc186, v30                    // 
v_accvgpr_write_b32 acc218, v34                    // 
v_accvgpr_write_b32 acc250, v38                    // 
v_accvgpr_write_b32 acc27, v11                     // 
v_accvgpr_write_b32 acc59, v15                     // 
v_accvgpr_write_b32 acc91, v19                     // 
v_accvgpr_write_b32 acc123, v23                    // 
v_accvgpr_write_b32 acc155, v27                    // 
v_accvgpr_write_b32 acc187, v31                    // 
v_accvgpr_write_b32 acc219, v35                    // 
v_accvgpr_write_b32 acc251, v39                    // 
s_mov_b64 s[54:55], 0xFFFFFFFFFFFFFFFF             // to restore all threads active
s_or_saveexec_b64 vcc, s[54:55]                    // all threads active
s_nop 3                                            // wait for exec mask
v_accvgpr_read_b32 v8, acc30                       // 
v_accvgpr_read_b32 v12, acc62                      // 
v_accvgpr_read_b32 v16, acc94                      // 
v_accvgpr_read_b32 v20, acc126                     // 
v_accvgpr_read_b32 v24, acc158                     // 
v_accvgpr_read_b32 v28, acc190                     // 
v_accvgpr_read_b32 v32, acc222                     // 
v_accvgpr_read_b32 v36, acc254                     // 
v_accvgpr_read_b32 v9, acc31                       // 
v_accvgpr_read_b32 v13, acc63                      // 
v_accvgpr_read_b32 v17, acc95                      // 
v_accvgpr_read_b32 v21, acc127                     // 
v_accvgpr_read_b32 v25, acc159                     // 
v_accvgpr_read_b32 v29, acc191                     // 
v_accvgpr_read_b32 v33, acc223                     // 
v_accvgpr_read_b32 v37, acc255                     // 
v_accvgpr_read_b32 v10, acc28                      // 
v_accvgpr_read_b32 v14, acc60                      // 
v_accvgpr_read_b32 v18, acc92                      // 
v_accvgpr_read_b32 v22, acc124                     // 
v_accvgpr_read_b32 v26, acc156                     // 
v_accvgpr_read_b32 v30, acc188                     // 
v_accvgpr_read_b32 v34, acc220                     // 
v_accvgpr_read_b32 v38, acc252                     // 
v_accvgpr_read_b32 v11, acc29                      // 
v_accvgpr_read_b32 v15, acc61                      // 
v_accvgpr_read_b32 v19, acc93                      // 
v_accvgpr_read_b32 v23, acc125                     // 
v_accvgpr_read_b32 v27, acc157                     // 
v_accvgpr_read_b32 v31, acc189                     // 
v_accvgpr_read_b32 v35, acc221                     // 
v_accvgpr_read_b32 v39, acc253                     // 
s_nop 1                                            // v_accvgpr read vgpr after write vgpr: 2 wait states
ds_bpermute_b32 v10, v6, v10, offset:128           // permute edge values
ds_bpermute_b32 v14, v6, v14, offset:128           // permute edge values
	;; [unrolled: 1-line block ×16, first 2 shown]
s_waitcnt lgkmcnt(0)                               // wait for swizzle operation
s_mov_b32 s54, 0                                   // which thread need to shfit in this block
_v_cmpx_eq_u32 s[54:55], v7, s54                   // is thread in edge glvw region
s_nop 3                                            // wait for exec mask
v_accvgpr_write_b32 acc28, v8                      // 
v_accvgpr_write_b32 acc60, v12                     // 
v_accvgpr_write_b32 acc92, v16                     // 
v_accvgpr_write_b32 acc124, v20                    // 
v_accvgpr_write_b32 acc156, v24                    // 
v_accvgpr_write_b32 acc188, v28                    // 
v_accvgpr_write_b32 acc220, v32                    // 
v_accvgpr_write_b32 acc252, v36                    // 
v_accvgpr_write_b32 acc29, v9                      // 
v_accvgpr_write_b32 acc61, v13                     // 
v_accvgpr_write_b32 acc93, v17                     // 
v_accvgpr_write_b32 acc125, v21                    // 
v_accvgpr_write_b32 acc157, v25                    // 
v_accvgpr_write_b32 acc189, v29                    // 
v_accvgpr_write_b32 acc221, v33                    // 
v_accvgpr_write_b32 acc253, v37                    // 
v_accvgpr_write_b32 acc30, v10                     // 
v_accvgpr_write_b32 acc62, v14                     // 
v_accvgpr_write_b32 acc94, v18                     // 
v_accvgpr_write_b32 acc126, v22                    // 
v_accvgpr_write_b32 acc158, v26                    // 
v_accvgpr_write_b32 acc190, v30                    // 
v_accvgpr_write_b32 acc222, v34                    // 
v_accvgpr_write_b32 acc254, v38                    // 
v_accvgpr_write_b32 acc31, v11                     // 
v_accvgpr_write_b32 acc63, v15                     // 
v_accvgpr_write_b32 acc95, v19                     // 
v_accvgpr_write_b32 acc127, v23                    // 
v_accvgpr_write_b32 acc159, v27                    // 
v_accvgpr_write_b32 acc191, v31                    // 
v_accvgpr_write_b32 acc223, v35                    // 
v_accvgpr_write_b32 acc255, v39                    // 
s_mov_b64 s[54:55], 0xFFFFFFFFFFFFFFFF             // to restore all threads active
s_or_saveexec_b64 vcc, s[54:55]                    // all threads active
s_nop 3                                            // wait for exec mask
v_accvgpr_read_b32 v8, acc30                       // 
v_accvgpr_read_b32 v12, acc62                      // 
v_accvgpr_read_b32 v16, acc94                      // 
v_accvgpr_read_b32 v20, acc126                     // 
v_accvgpr_read_b32 v24, acc158                     // 
v_accvgpr_read_b32 v28, acc190                     // 
v_accvgpr_read_b32 v32, acc222                     // 
v_accvgpr_read_b32 v36, acc254                     // 
v_accvgpr_read_b32 v9, acc31                       // 
v_accvgpr_read_b32 v13, acc63                      // 
v_accvgpr_read_b32 v17, acc95                      // 
v_accvgpr_read_b32 v21, acc127                     // 
v_accvgpr_read_b32 v25, acc159                     // 
v_accvgpr_read_b32 v29, acc191                     // 
v_accvgpr_read_b32 v33, acc223                     // 
v_accvgpr_read_b32 v37, acc255                     // 
s_nop 1                                            // v_accvgpr read vgpr after write vgpr: 2 wait states
s_mov_b32 s54, 1                                   // which thread need to shfit in this block
_v_cmpx_eq_u32 s[54:55], v7, s54                   // is thread in edge glvw region
s_nop 3                                            // wait for exec mask
v_accvgpr_write_b32 acc28, v8                      // 
v_accvgpr_write_b32 acc60, v12                     // 
v_accvgpr_write_b32 acc92, v16                     // 
v_accvgpr_write_b32 acc124, v20                    // 
v_accvgpr_write_b32 acc156, v24                    // 
v_accvgpr_write_b32 acc188, v28                    // 
v_accvgpr_write_b32 acc220, v32                    // 
v_accvgpr_write_b32 acc252, v36                    // 
v_accvgpr_write_b32 acc29, v9                      // 
v_accvgpr_write_b32 acc61, v13                     // 
v_accvgpr_write_b32 acc93, v17                     // 
v_accvgpr_write_b32 acc125, v21                    // 
v_accvgpr_write_b32 acc157, v25                    // 
v_accvgpr_write_b32 acc189, v29                    // 
v_accvgpr_write_b32 acc221, v33                    // 
v_accvgpr_write_b32 acc253, v37                    // 
s_mov_b64 s[54:55], 0xFFFFFFFFFFFFFFFF             // to restore all threads active
s_or_saveexec_b64 vcc, s[54:55]                    // all threads active
s_nop 3                                            // wait for exec mask
s_branch label_0106                                // done

/******************************************/
/* shift d0 shift=15 glvwblk=0            */
/******************************************/
label_0102:
v_and_b32 v6, 63, v[vgprSerial]                    // permute register between threads
v_lshlrev_b32 v6, 0x2, v6                          // permute register between threads
v_lshrrev_b32 v0, 5, v[vgprSerial]                 // v0 = v[vgprSerial] / 32
v_and_b32 v7, 1, v0                                // v7 = v0 % 2
v_accvgpr_read_b32 v8, acc1                        // 
v_accvgpr_read_b32 v12, acc33                      // 
v_accvgpr_read_b32 v16, acc65                      // 
v_accvgpr_read_b32 v20, acc97                      // 
v_accvgpr_read_b32 v24, acc129                     // 
v_accvgpr_read_b32 v28, acc161                     // 
v_accvgpr_read_b32 v32, acc193                     // 
v_accvgpr_read_b32 v36, acc225                     // 
v_accvgpr_read_b32 v9, acc2                        // 
v_accvgpr_read_b32 v13, acc34                      // 
v_accvgpr_read_b32 v17, acc66                      // 
v_accvgpr_read_b32 v21, acc98                      // 
v_accvgpr_read_b32 v25, acc130                     // 
v_accvgpr_read_b32 v29, acc162                     // 
v_accvgpr_read_b32 v33, acc194                     // 
v_accvgpr_read_b32 v37, acc226                     // 
v_accvgpr_read_b32 v10, acc3                       // 
v_accvgpr_read_b32 v14, acc35                      // 
v_accvgpr_read_b32 v18, acc67                      // 
v_accvgpr_read_b32 v22, acc99                      // 
v_accvgpr_read_b32 v26, acc131                     // 
v_accvgpr_read_b32 v30, acc163                     // 
v_accvgpr_read_b32 v34, acc195                     // 
v_accvgpr_read_b32 v38, acc227                     // 
v_accvgpr_read_b32 v11, acc0                       // 
v_accvgpr_read_b32 v15, acc32                      // 
v_accvgpr_read_b32 v19, acc64                      // 
v_accvgpr_read_b32 v23, acc96                      // 
v_accvgpr_read_b32 v27, acc128                     // 
v_accvgpr_read_b32 v31, acc160                     // 
v_accvgpr_read_b32 v35, acc192                     // 
v_accvgpr_read_b32 v39, acc224                     // 
s_nop 1                                            // v_accvgpr read vgpr after write vgpr: 2 wait states
ds_bpermute_b32 v11, v6, v11, offset:128           // permute edge values
ds_bpermute_b32 v15, v6, v15, offset:128           // permute edge values
	;; [unrolled: 1-line block ×8, first 2 shown]
s_waitcnt lgkmcnt(0)                               // wait for swizzle operation
s_mov_b32 s54, 0                                   // which thread need to shfit in this block
_v_cmpx_eq_u32 s[54:55], v7, s54                   // is thread in edge glvw region
s_nop 3                                            // wait for exec mask
v_accvgpr_write_b32 acc0, v8                       // 
v_accvgpr_write_b32 acc32, v12                     // 
v_accvgpr_write_b32 acc64, v16                     // 
v_accvgpr_write_b32 acc96, v20                     // 
v_accvgpr_write_b32 acc128, v24                    // 
v_accvgpr_write_b32 acc160, v28                    // 
v_accvgpr_write_b32 acc192, v32                    // 
v_accvgpr_write_b32 acc224, v36                    // 
v_accvgpr_write_b32 acc1, v9                       // 
v_accvgpr_write_b32 acc33, v13                     // 
v_accvgpr_write_b32 acc65, v17                     // 
v_accvgpr_write_b32 acc97, v21                     // 
v_accvgpr_write_b32 acc129, v25                    // 
v_accvgpr_write_b32 acc161, v29                    // 
v_accvgpr_write_b32 acc193, v33                    // 
v_accvgpr_write_b32 acc225, v37                    // 
v_accvgpr_write_b32 acc2, v10                      // 
v_accvgpr_write_b32 acc34, v14                     // 
v_accvgpr_write_b32 acc66, v18                     // 
v_accvgpr_write_b32 acc98, v22                     // 
v_accvgpr_write_b32 acc130, v26                    // 
v_accvgpr_write_b32 acc162, v30                    // 
v_accvgpr_write_b32 acc194, v34                    // 
v_accvgpr_write_b32 acc226, v38                    // 
v_accvgpr_write_b32 acc3, v11                      // 
v_accvgpr_write_b32 acc35, v15                     // 
v_accvgpr_write_b32 acc67, v19                     // 
v_accvgpr_write_b32 acc99, v23                     // 
v_accvgpr_write_b32 acc131, v27                    // 
v_accvgpr_write_b32 acc163, v31                    // 
v_accvgpr_write_b32 acc195, v35                    // 
v_accvgpr_write_b32 acc227, v39                    // 
s_mov_b64 s[54:55], 0xFFFFFFFFFFFFFFFF             // to restore all threads active
s_or_saveexec_b64 vcc, s[54:55]                    // all threads active
s_nop 3                                            // wait for exec mask
v_accvgpr_read_b32 v8, acc1                        // 
v_accvgpr_read_b32 v12, acc33                      // 
v_accvgpr_read_b32 v16, acc65                      // 
v_accvgpr_read_b32 v20, acc97                      // 
v_accvgpr_read_b32 v24, acc129                     // 
v_accvgpr_read_b32 v28, acc161                     // 
v_accvgpr_read_b32 v32, acc193                     // 
v_accvgpr_read_b32 v36, acc225                     // 
v_accvgpr_read_b32 v9, acc2                        // 
v_accvgpr_read_b32 v13, acc34                      // 
v_accvgpr_read_b32 v17, acc66                      // 
v_accvgpr_read_b32 v21, acc98                      // 
v_accvgpr_read_b32 v25, acc130                     // 
v_accvgpr_read_b32 v29, acc162                     // 
v_accvgpr_read_b32 v33, acc194                     // 
v_accvgpr_read_b32 v37, acc226                     // 
v_accvgpr_read_b32 v10, acc3                       // 
v_accvgpr_read_b32 v14, acc35                      // 
v_accvgpr_read_b32 v18, acc67                      // 
v_accvgpr_read_b32 v22, acc99                      // 
v_accvgpr_read_b32 v26, acc131                     // 
v_accvgpr_read_b32 v30, acc163                     // 
v_accvgpr_read_b32 v34, acc195                     // 
v_accvgpr_read_b32 v38, acc227                     // 
v_accvgpr_read_b32 v11, acc4                       // 
v_accvgpr_read_b32 v15, acc36                      // 
v_accvgpr_read_b32 v19, acc68                      // 
v_accvgpr_read_b32 v23, acc100                     // 
v_accvgpr_read_b32 v27, acc132                     // 
v_accvgpr_read_b32 v31, acc164                     // 
v_accvgpr_read_b32 v35, acc196                     // 
v_accvgpr_read_b32 v39, acc228                     // 
s_nop 1                                            // v_accvgpr read vgpr after write vgpr: 2 wait states
ds_bpermute_b32 v11, v6, v11, offset:128           // permute edge values
ds_bpermute_b32 v15, v6, v15, offset:128           // permute edge values
	;; [unrolled: 1-line block ×8, first 2 shown]
s_waitcnt lgkmcnt(0)                               // wait for swizzle operation
s_mov_b32 s54, 1                                   // which thread need to shfit in this block
_v_cmpx_eq_u32 s[54:55], v7, s54                   // is thread in edge glvw region
s_nop 3                                            // wait for exec mask
v_accvgpr_write_b32 acc0, v8                       // 
v_accvgpr_write_b32 acc32, v12                     // 
v_accvgpr_write_b32 acc64, v16                     // 
v_accvgpr_write_b32 acc96, v20                     // 
v_accvgpr_write_b32 acc128, v24                    // 
v_accvgpr_write_b32 acc160, v28                    // 
v_accvgpr_write_b32 acc192, v32                    // 
v_accvgpr_write_b32 acc224, v36                    // 
v_accvgpr_write_b32 acc1, v9                       // 
v_accvgpr_write_b32 acc33, v13                     // 
v_accvgpr_write_b32 acc65, v17                     // 
v_accvgpr_write_b32 acc97, v21                     // 
v_accvgpr_write_b32 acc129, v25                    // 
v_accvgpr_write_b32 acc161, v29                    // 
v_accvgpr_write_b32 acc193, v33                    // 
v_accvgpr_write_b32 acc225, v37                    // 
v_accvgpr_write_b32 acc2, v10                      // 
v_accvgpr_write_b32 acc34, v14                     // 
v_accvgpr_write_b32 acc66, v18                     // 
v_accvgpr_write_b32 acc98, v22                     // 
v_accvgpr_write_b32 acc130, v26                    // 
v_accvgpr_write_b32 acc162, v30                    // 
v_accvgpr_write_b32 acc194, v34                    // 
v_accvgpr_write_b32 acc226, v38                    // 
v_accvgpr_write_b32 acc3, v11                      // 
v_accvgpr_write_b32 acc35, v15                     // 
v_accvgpr_write_b32 acc67, v19                     // 
v_accvgpr_write_b32 acc99, v23                     // 
v_accvgpr_write_b32 acc131, v27                    // 
v_accvgpr_write_b32 acc163, v31                    // 
v_accvgpr_write_b32 acc195, v35                    // 
v_accvgpr_write_b32 acc227, v39                    // 
s_mov_b64 s[54:55], 0xFFFFFFFFFFFFFFFF             // to restore all threads active
s_or_saveexec_b64 vcc, s[54:55]                    // all threads active
s_nop 3                                            // wait for exec mask
v_accvgpr_read_b32 v8, acc5                        // 
v_accvgpr_read_b32 v12, acc37                      // 
v_accvgpr_read_b32 v16, acc69                      // 
v_accvgpr_read_b32 v20, acc101                     // 
v_accvgpr_read_b32 v24, acc133                     // 
v_accvgpr_read_b32 v28, acc165                     // 
v_accvgpr_read_b32 v32, acc197                     // 
v_accvgpr_read_b32 v36, acc229                     // 
v_accvgpr_read_b32 v9, acc6                        // 
v_accvgpr_read_b32 v13, acc38                      // 
v_accvgpr_read_b32 v17, acc70                      // 
v_accvgpr_read_b32 v21, acc102                     // 
v_accvgpr_read_b32 v25, acc134                     // 
v_accvgpr_read_b32 v29, acc166                     // 
v_accvgpr_read_b32 v33, acc198                     // 
v_accvgpr_read_b32 v37, acc230                     // 
v_accvgpr_read_b32 v10, acc7                       // 
v_accvgpr_read_b32 v14, acc39                      // 
v_accvgpr_read_b32 v18, acc71                      // 
v_accvgpr_read_b32 v22, acc103                     // 
v_accvgpr_read_b32 v26, acc135                     // 
v_accvgpr_read_b32 v30, acc167                     // 
v_accvgpr_read_b32 v34, acc199                     // 
v_accvgpr_read_b32 v38, acc231                     // 
v_accvgpr_read_b32 v11, acc4                       // 
v_accvgpr_read_b32 v15, acc36                      // 
v_accvgpr_read_b32 v19, acc68                      // 
v_accvgpr_read_b32 v23, acc100                     // 
v_accvgpr_read_b32 v27, acc132                     // 
v_accvgpr_read_b32 v31, acc164                     // 
v_accvgpr_read_b32 v35, acc196                     // 
v_accvgpr_read_b32 v39, acc228                     // 
s_nop 1                                            // v_accvgpr read vgpr after write vgpr: 2 wait states
ds_bpermute_b32 v11, v6, v11, offset:128           // permute edge values
ds_bpermute_b32 v15, v6, v15, offset:128           // permute edge values
	;; [unrolled: 1-line block ×8, first 2 shown]
s_waitcnt lgkmcnt(0)                               // wait for swizzle operation
s_mov_b32 s54, 0                                   // which thread need to shfit in this block
_v_cmpx_eq_u32 s[54:55], v7, s54                   // is thread in edge glvw region
s_nop 3                                            // wait for exec mask
v_accvgpr_write_b32 acc4, v8                       // 
v_accvgpr_write_b32 acc36, v12                     // 
v_accvgpr_write_b32 acc68, v16                     // 
v_accvgpr_write_b32 acc100, v20                    // 
v_accvgpr_write_b32 acc132, v24                    // 
v_accvgpr_write_b32 acc164, v28                    // 
v_accvgpr_write_b32 acc196, v32                    // 
v_accvgpr_write_b32 acc228, v36                    // 
v_accvgpr_write_b32 acc5, v9                       // 
v_accvgpr_write_b32 acc37, v13                     // 
v_accvgpr_write_b32 acc69, v17                     // 
v_accvgpr_write_b32 acc101, v21                    // 
v_accvgpr_write_b32 acc133, v25                    // 
v_accvgpr_write_b32 acc165, v29                    // 
v_accvgpr_write_b32 acc197, v33                    // 
v_accvgpr_write_b32 acc229, v37                    // 
v_accvgpr_write_b32 acc6, v10                      // 
v_accvgpr_write_b32 acc38, v14                     // 
v_accvgpr_write_b32 acc70, v18                     // 
v_accvgpr_write_b32 acc102, v22                    // 
v_accvgpr_write_b32 acc134, v26                    // 
v_accvgpr_write_b32 acc166, v30                    // 
v_accvgpr_write_b32 acc198, v34                    // 
v_accvgpr_write_b32 acc230, v38                    // 
v_accvgpr_write_b32 acc7, v11                      // 
v_accvgpr_write_b32 acc39, v15                     // 
v_accvgpr_write_b32 acc71, v19                     // 
v_accvgpr_write_b32 acc103, v23                    // 
v_accvgpr_write_b32 acc135, v27                    // 
v_accvgpr_write_b32 acc167, v31                    // 
v_accvgpr_write_b32 acc199, v35                    // 
v_accvgpr_write_b32 acc231, v39                    // 
s_mov_b64 s[54:55], 0xFFFFFFFFFFFFFFFF             // to restore all threads active
s_or_saveexec_b64 vcc, s[54:55]                    // all threads active
s_nop 3                                            // wait for exec mask
v_accvgpr_read_b32 v8, acc5                        // 
v_accvgpr_read_b32 v12, acc37                      // 
v_accvgpr_read_b32 v16, acc69                      // 
v_accvgpr_read_b32 v20, acc101                     // 
v_accvgpr_read_b32 v24, acc133                     // 
v_accvgpr_read_b32 v28, acc165                     // 
v_accvgpr_read_b32 v32, acc197                     // 
v_accvgpr_read_b32 v36, acc229                     // 
v_accvgpr_read_b32 v9, acc6                        // 
v_accvgpr_read_b32 v13, acc38                      // 
v_accvgpr_read_b32 v17, acc70                      // 
v_accvgpr_read_b32 v21, acc102                     // 
v_accvgpr_read_b32 v25, acc134                     // 
v_accvgpr_read_b32 v29, acc166                     // 
v_accvgpr_read_b32 v33, acc198                     // 
v_accvgpr_read_b32 v37, acc230                     // 
v_accvgpr_read_b32 v10, acc7                       // 
v_accvgpr_read_b32 v14, acc39                      // 
v_accvgpr_read_b32 v18, acc71                      // 
v_accvgpr_read_b32 v22, acc103                     // 
v_accvgpr_read_b32 v26, acc135                     // 
v_accvgpr_read_b32 v30, acc167                     // 
v_accvgpr_read_b32 v34, acc199                     // 
v_accvgpr_read_b32 v38, acc231                     // 
s_nop 1                                            // v_accvgpr read vgpr after write vgpr: 2 wait states
s_mov_b32 s54, 1                                   // which thread need to shfit in this block
_v_cmpx_eq_u32 s[54:55], v7, s54                   // is thread in edge glvw region
s_nop 3                                            // wait for exec mask
v_accvgpr_write_b32 acc4, v8                       // 
v_accvgpr_write_b32 acc36, v12                     // 
v_accvgpr_write_b32 acc68, v16                     // 
v_accvgpr_write_b32 acc100, v20                    // 
v_accvgpr_write_b32 acc132, v24                    // 
v_accvgpr_write_b32 acc164, v28                    // 
v_accvgpr_write_b32 acc196, v32                    // 
v_accvgpr_write_b32 acc228, v36                    // 
v_accvgpr_write_b32 acc5, v9                       // 
v_accvgpr_write_b32 acc37, v13                     // 
v_accvgpr_write_b32 acc69, v17                     // 
v_accvgpr_write_b32 acc101, v21                    // 
v_accvgpr_write_b32 acc133, v25                    // 
v_accvgpr_write_b32 acc165, v29                    // 
v_accvgpr_write_b32 acc197, v33                    // 
v_accvgpr_write_b32 acc229, v37                    // 
v_accvgpr_write_b32 acc6, v10                      // 
v_accvgpr_write_b32 acc38, v14                     // 
v_accvgpr_write_b32 acc70, v18                     // 
v_accvgpr_write_b32 acc102, v22                    // 
v_accvgpr_write_b32 acc134, v26                    // 
v_accvgpr_write_b32 acc166, v30                    // 
v_accvgpr_write_b32 acc198, v34                    // 
v_accvgpr_write_b32 acc230, v38                    // 
s_mov_b64 s[54:55], 0xFFFFFFFFFFFFFFFF             // to restore all threads active
s_or_saveexec_b64 vcc, s[54:55]                    // all threads active
s_nop 3                                            // wait for exec mask
s_branch label_0106                                // done

/******************************************/
/* shift d0 shift=15 glvwblk=1            */
/******************************************/
label_0103:
v_and_b32 v6, 63, v[vgprSerial]                    // permute register between threads
v_lshlrev_b32 v6, 0x2, v6                          // permute register between threads
v_lshrrev_b32 v0, 5, v[vgprSerial]                 // v0 = v[vgprSerial] / 32
v_and_b32 v7, 1, v0                                // v7 = v0 % 2
v_accvgpr_read_b32 v8, acc9                        // 
v_accvgpr_read_b32 v12, acc41                      // 
v_accvgpr_read_b32 v16, acc73                      // 
v_accvgpr_read_b32 v20, acc105                     // 
v_accvgpr_read_b32 v24, acc137                     // 
v_accvgpr_read_b32 v28, acc169                     // 
v_accvgpr_read_b32 v32, acc201                     // 
v_accvgpr_read_b32 v36, acc233                     // 
v_accvgpr_read_b32 v9, acc10                       // 
v_accvgpr_read_b32 v13, acc42                      // 
v_accvgpr_read_b32 v17, acc74                      // 
v_accvgpr_read_b32 v21, acc106                     // 
v_accvgpr_read_b32 v25, acc138                     // 
v_accvgpr_read_b32 v29, acc170                     // 
v_accvgpr_read_b32 v33, acc202                     // 
v_accvgpr_read_b32 v37, acc234                     // 
v_accvgpr_read_b32 v10, acc11                      // 
v_accvgpr_read_b32 v14, acc43                      // 
v_accvgpr_read_b32 v18, acc75                      // 
v_accvgpr_read_b32 v22, acc107                     // 
v_accvgpr_read_b32 v26, acc139                     // 
v_accvgpr_read_b32 v30, acc171                     // 
v_accvgpr_read_b32 v34, acc203                     // 
v_accvgpr_read_b32 v38, acc235                     // 
v_accvgpr_read_b32 v11, acc8                       // 
v_accvgpr_read_b32 v15, acc40                      // 
v_accvgpr_read_b32 v19, acc72                      // 
v_accvgpr_read_b32 v23, acc104                     // 
v_accvgpr_read_b32 v27, acc136                     // 
v_accvgpr_read_b32 v31, acc168                     // 
v_accvgpr_read_b32 v35, acc200                     // 
v_accvgpr_read_b32 v39, acc232                     // 
s_nop 1                                            // v_accvgpr read vgpr after write vgpr: 2 wait states
ds_bpermute_b32 v11, v6, v11, offset:128           // permute edge values
ds_bpermute_b32 v15, v6, v15, offset:128           // permute edge values
	;; [unrolled: 1-line block ×8, first 2 shown]
s_waitcnt lgkmcnt(0)                               // wait for swizzle operation
s_mov_b32 s54, 0                                   // which thread need to shfit in this block
_v_cmpx_eq_u32 s[54:55], v7, s54                   // is thread in edge glvw region
s_nop 3                                            // wait for exec mask
v_accvgpr_write_b32 acc8, v8                       // 
v_accvgpr_write_b32 acc40, v12                     // 
v_accvgpr_write_b32 acc72, v16                     // 
v_accvgpr_write_b32 acc104, v20                    // 
v_accvgpr_write_b32 acc136, v24                    // 
v_accvgpr_write_b32 acc168, v28                    // 
v_accvgpr_write_b32 acc200, v32                    // 
v_accvgpr_write_b32 acc232, v36                    // 
v_accvgpr_write_b32 acc9, v9                       // 
v_accvgpr_write_b32 acc41, v13                     // 
v_accvgpr_write_b32 acc73, v17                     // 
v_accvgpr_write_b32 acc105, v21                    // 
v_accvgpr_write_b32 acc137, v25                    // 
v_accvgpr_write_b32 acc169, v29                    // 
v_accvgpr_write_b32 acc201, v33                    // 
v_accvgpr_write_b32 acc233, v37                    // 
v_accvgpr_write_b32 acc10, v10                     // 
v_accvgpr_write_b32 acc42, v14                     // 
v_accvgpr_write_b32 acc74, v18                     // 
v_accvgpr_write_b32 acc106, v22                    // 
v_accvgpr_write_b32 acc138, v26                    // 
v_accvgpr_write_b32 acc170, v30                    // 
v_accvgpr_write_b32 acc202, v34                    // 
v_accvgpr_write_b32 acc234, v38                    // 
v_accvgpr_write_b32 acc11, v11                     // 
v_accvgpr_write_b32 acc43, v15                     // 
v_accvgpr_write_b32 acc75, v19                     // 
v_accvgpr_write_b32 acc107, v23                    // 
v_accvgpr_write_b32 acc139, v27                    // 
v_accvgpr_write_b32 acc171, v31                    // 
v_accvgpr_write_b32 acc203, v35                    // 
v_accvgpr_write_b32 acc235, v39                    // 
s_mov_b64 s[54:55], 0xFFFFFFFFFFFFFFFF             // to restore all threads active
s_or_saveexec_b64 vcc, s[54:55]                    // all threads active
s_nop 3                                            // wait for exec mask
v_accvgpr_read_b32 v8, acc9                        // 
v_accvgpr_read_b32 v12, acc41                      // 
v_accvgpr_read_b32 v16, acc73                      // 
v_accvgpr_read_b32 v20, acc105                     // 
v_accvgpr_read_b32 v24, acc137                     // 
v_accvgpr_read_b32 v28, acc169                     // 
v_accvgpr_read_b32 v32, acc201                     // 
v_accvgpr_read_b32 v36, acc233                     // 
v_accvgpr_read_b32 v9, acc10                       // 
v_accvgpr_read_b32 v13, acc42                      // 
v_accvgpr_read_b32 v17, acc74                      // 
v_accvgpr_read_b32 v21, acc106                     // 
v_accvgpr_read_b32 v25, acc138                     // 
v_accvgpr_read_b32 v29, acc170                     // 
v_accvgpr_read_b32 v33, acc202                     // 
v_accvgpr_read_b32 v37, acc234                     // 
v_accvgpr_read_b32 v10, acc11                      // 
v_accvgpr_read_b32 v14, acc43                      // 
v_accvgpr_read_b32 v18, acc75                      // 
v_accvgpr_read_b32 v22, acc107                     // 
v_accvgpr_read_b32 v26, acc139                     // 
v_accvgpr_read_b32 v30, acc171                     // 
v_accvgpr_read_b32 v34, acc203                     // 
v_accvgpr_read_b32 v38, acc235                     // 
v_accvgpr_read_b32 v11, acc12                      // 
v_accvgpr_read_b32 v15, acc44                      // 
v_accvgpr_read_b32 v19, acc76                      // 
v_accvgpr_read_b32 v23, acc108                     // 
v_accvgpr_read_b32 v27, acc140                     // 
v_accvgpr_read_b32 v31, acc172                     // 
v_accvgpr_read_b32 v35, acc204                     // 
v_accvgpr_read_b32 v39, acc236                     // 
s_nop 1                                            // v_accvgpr read vgpr after write vgpr: 2 wait states
ds_bpermute_b32 v11, v6, v11, offset:128           // permute edge values
ds_bpermute_b32 v15, v6, v15, offset:128           // permute edge values
	;; [unrolled: 1-line block ×8, first 2 shown]
s_waitcnt lgkmcnt(0)                               // wait for swizzle operation
s_mov_b32 s54, 1                                   // which thread need to shfit in this block
_v_cmpx_eq_u32 s[54:55], v7, s54                   // is thread in edge glvw region
s_nop 3                                            // wait for exec mask
v_accvgpr_write_b32 acc8, v8                       // 
v_accvgpr_write_b32 acc40, v12                     // 
v_accvgpr_write_b32 acc72, v16                     // 
v_accvgpr_write_b32 acc104, v20                    // 
v_accvgpr_write_b32 acc136, v24                    // 
v_accvgpr_write_b32 acc168, v28                    // 
v_accvgpr_write_b32 acc200, v32                    // 
v_accvgpr_write_b32 acc232, v36                    // 
v_accvgpr_write_b32 acc9, v9                       // 
v_accvgpr_write_b32 acc41, v13                     // 
v_accvgpr_write_b32 acc73, v17                     // 
v_accvgpr_write_b32 acc105, v21                    // 
v_accvgpr_write_b32 acc137, v25                    // 
v_accvgpr_write_b32 acc169, v29                    // 
v_accvgpr_write_b32 acc201, v33                    // 
v_accvgpr_write_b32 acc233, v37                    // 
v_accvgpr_write_b32 acc10, v10                     // 
v_accvgpr_write_b32 acc42, v14                     // 
v_accvgpr_write_b32 acc74, v18                     // 
v_accvgpr_write_b32 acc106, v22                    // 
v_accvgpr_write_b32 acc138, v26                    // 
v_accvgpr_write_b32 acc170, v30                    // 
v_accvgpr_write_b32 acc202, v34                    // 
v_accvgpr_write_b32 acc234, v38                    // 
v_accvgpr_write_b32 acc11, v11                     // 
v_accvgpr_write_b32 acc43, v15                     // 
v_accvgpr_write_b32 acc75, v19                     // 
v_accvgpr_write_b32 acc107, v23                    // 
v_accvgpr_write_b32 acc139, v27                    // 
v_accvgpr_write_b32 acc171, v31                    // 
v_accvgpr_write_b32 acc203, v35                    // 
v_accvgpr_write_b32 acc235, v39                    // 
s_mov_b64 s[54:55], 0xFFFFFFFFFFFFFFFF             // to restore all threads active
s_or_saveexec_b64 vcc, s[54:55]                    // all threads active
s_nop 3                                            // wait for exec mask
v_accvgpr_read_b32 v8, acc13                       // 
v_accvgpr_read_b32 v12, acc45                      // 
v_accvgpr_read_b32 v16, acc77                      // 
v_accvgpr_read_b32 v20, acc109                     // 
v_accvgpr_read_b32 v24, acc141                     // 
v_accvgpr_read_b32 v28, acc173                     // 
v_accvgpr_read_b32 v32, acc205                     // 
v_accvgpr_read_b32 v36, acc237                     // 
v_accvgpr_read_b32 v9, acc14                       // 
v_accvgpr_read_b32 v13, acc46                      // 
v_accvgpr_read_b32 v17, acc78                      // 
v_accvgpr_read_b32 v21, acc110                     // 
v_accvgpr_read_b32 v25, acc142                     // 
v_accvgpr_read_b32 v29, acc174                     // 
v_accvgpr_read_b32 v33, acc206                     // 
v_accvgpr_read_b32 v37, acc238                     // 
v_accvgpr_read_b32 v10, acc15                      // 
v_accvgpr_read_b32 v14, acc47                      // 
v_accvgpr_read_b32 v18, acc79                      // 
v_accvgpr_read_b32 v22, acc111                     // 
v_accvgpr_read_b32 v26, acc143                     // 
v_accvgpr_read_b32 v30, acc175                     // 
v_accvgpr_read_b32 v34, acc207                     // 
v_accvgpr_read_b32 v38, acc239                     // 
v_accvgpr_read_b32 v11, acc12                      // 
v_accvgpr_read_b32 v15, acc44                      // 
v_accvgpr_read_b32 v19, acc76                      // 
v_accvgpr_read_b32 v23, acc108                     // 
v_accvgpr_read_b32 v27, acc140                     // 
v_accvgpr_read_b32 v31, acc172                     // 
v_accvgpr_read_b32 v35, acc204                     // 
v_accvgpr_read_b32 v39, acc236                     // 
s_nop 1                                            // v_accvgpr read vgpr after write vgpr: 2 wait states
ds_bpermute_b32 v11, v6, v11, offset:128           // permute edge values
ds_bpermute_b32 v15, v6, v15, offset:128           // permute edge values
	;; [unrolled: 1-line block ×8, first 2 shown]
s_waitcnt lgkmcnt(0)                               // wait for swizzle operation
s_mov_b32 s54, 0                                   // which thread need to shfit in this block
_v_cmpx_eq_u32 s[54:55], v7, s54                   // is thread in edge glvw region
s_nop 3                                            // wait for exec mask
v_accvgpr_write_b32 acc12, v8                      // 
v_accvgpr_write_b32 acc44, v12                     // 
v_accvgpr_write_b32 acc76, v16                     // 
v_accvgpr_write_b32 acc108, v20                    // 
v_accvgpr_write_b32 acc140, v24                    // 
v_accvgpr_write_b32 acc172, v28                    // 
v_accvgpr_write_b32 acc204, v32                    // 
v_accvgpr_write_b32 acc236, v36                    // 
v_accvgpr_write_b32 acc13, v9                      // 
v_accvgpr_write_b32 acc45, v13                     // 
v_accvgpr_write_b32 acc77, v17                     // 
v_accvgpr_write_b32 acc109, v21                    // 
v_accvgpr_write_b32 acc141, v25                    // 
v_accvgpr_write_b32 acc173, v29                    // 
v_accvgpr_write_b32 acc205, v33                    // 
v_accvgpr_write_b32 acc237, v37                    // 
v_accvgpr_write_b32 acc14, v10                     // 
v_accvgpr_write_b32 acc46, v14                     // 
v_accvgpr_write_b32 acc78, v18                     // 
v_accvgpr_write_b32 acc110, v22                    // 
v_accvgpr_write_b32 acc142, v26                    // 
v_accvgpr_write_b32 acc174, v30                    // 
v_accvgpr_write_b32 acc206, v34                    // 
v_accvgpr_write_b32 acc238, v38                    // 
v_accvgpr_write_b32 acc15, v11                     // 
v_accvgpr_write_b32 acc47, v15                     // 
v_accvgpr_write_b32 acc79, v19                     // 
v_accvgpr_write_b32 acc111, v23                    // 
v_accvgpr_write_b32 acc143, v27                    // 
v_accvgpr_write_b32 acc175, v31                    // 
v_accvgpr_write_b32 acc207, v35                    // 
v_accvgpr_write_b32 acc239, v39                    // 
s_mov_b64 s[54:55], 0xFFFFFFFFFFFFFFFF             // to restore all threads active
s_or_saveexec_b64 vcc, s[54:55]                    // all threads active
s_nop 3                                            // wait for exec mask
v_accvgpr_read_b32 v8, acc13                       // 
v_accvgpr_read_b32 v12, acc45                      // 
v_accvgpr_read_b32 v16, acc77                      // 
v_accvgpr_read_b32 v20, acc109                     // 
v_accvgpr_read_b32 v24, acc141                     // 
v_accvgpr_read_b32 v28, acc173                     // 
v_accvgpr_read_b32 v32, acc205                     // 
v_accvgpr_read_b32 v36, acc237                     // 
v_accvgpr_read_b32 v9, acc14                       // 
v_accvgpr_read_b32 v13, acc46                      // 
v_accvgpr_read_b32 v17, acc78                      // 
v_accvgpr_read_b32 v21, acc110                     // 
v_accvgpr_read_b32 v25, acc142                     // 
v_accvgpr_read_b32 v29, acc174                     // 
v_accvgpr_read_b32 v33, acc206                     // 
v_accvgpr_read_b32 v37, acc238                     // 
v_accvgpr_read_b32 v10, acc15                      // 
v_accvgpr_read_b32 v14, acc47                      // 
v_accvgpr_read_b32 v18, acc79                      // 
v_accvgpr_read_b32 v22, acc111                     // 
v_accvgpr_read_b32 v26, acc143                     // 
v_accvgpr_read_b32 v30, acc175                     // 
v_accvgpr_read_b32 v34, acc207                     // 
v_accvgpr_read_b32 v38, acc239                     // 
s_nop 1                                            // v_accvgpr read vgpr after write vgpr: 2 wait states
s_mov_b32 s54, 1                                   // which thread need to shfit in this block
_v_cmpx_eq_u32 s[54:55], v7, s54                   // is thread in edge glvw region
s_nop 3                                            // wait for exec mask
v_accvgpr_write_b32 acc12, v8                      // 
v_accvgpr_write_b32 acc44, v12                     // 
v_accvgpr_write_b32 acc76, v16                     // 
v_accvgpr_write_b32 acc108, v20                    // 
v_accvgpr_write_b32 acc140, v24                    // 
v_accvgpr_write_b32 acc172, v28                    // 
v_accvgpr_write_b32 acc204, v32                    // 
v_accvgpr_write_b32 acc236, v36                    // 
v_accvgpr_write_b32 acc13, v9                      // 
v_accvgpr_write_b32 acc45, v13                     // 
v_accvgpr_write_b32 acc77, v17                     // 
v_accvgpr_write_b32 acc109, v21                    // 
v_accvgpr_write_b32 acc141, v25                    // 
v_accvgpr_write_b32 acc173, v29                    // 
v_accvgpr_write_b32 acc205, v33                    // 
v_accvgpr_write_b32 acc237, v37                    // 
v_accvgpr_write_b32 acc14, v10                     // 
v_accvgpr_write_b32 acc46, v14                     // 
v_accvgpr_write_b32 acc78, v18                     // 
v_accvgpr_write_b32 acc110, v22                    // 
v_accvgpr_write_b32 acc142, v26                    // 
v_accvgpr_write_b32 acc174, v30                    // 
v_accvgpr_write_b32 acc206, v34                    // 
v_accvgpr_write_b32 acc238, v38                    // 
s_mov_b64 s[54:55], 0xFFFFFFFFFFFFFFFF             // to restore all threads active
s_or_saveexec_b64 vcc, s[54:55]                    // all threads active
s_nop 3                                            // wait for exec mask
s_branch label_0106                                // done

/******************************************/
/* shift d0 shift=15 glvwblk=0            */
/******************************************/
label_0104:
v_and_b32 v6, 63, v[vgprSerial]                    // permute register between threads
v_lshlrev_b32 v6, 0x2, v6                          // permute register between threads
v_lshrrev_b32 v0, 5, v[vgprSerial]                 // v0 = v[vgprSerial] / 32
v_and_b32 v7, 1, v0                                // v7 = v0 % 2
v_accvgpr_read_b32 v8, acc17                       // 
v_accvgpr_read_b32 v12, acc49                      // 
v_accvgpr_read_b32 v16, acc81                      // 
v_accvgpr_read_b32 v20, acc113                     // 
v_accvgpr_read_b32 v24, acc145                     // 
v_accvgpr_read_b32 v28, acc177                     // 
v_accvgpr_read_b32 v32, acc209                     // 
v_accvgpr_read_b32 v36, acc241                     // 
v_accvgpr_read_b32 v9, acc18                       // 
v_accvgpr_read_b32 v13, acc50                      // 
v_accvgpr_read_b32 v17, acc82                      // 
v_accvgpr_read_b32 v21, acc114                     // 
v_accvgpr_read_b32 v25, acc146                     // 
v_accvgpr_read_b32 v29, acc178                     // 
v_accvgpr_read_b32 v33, acc210                     // 
v_accvgpr_read_b32 v37, acc242                     // 
v_accvgpr_read_b32 v10, acc19                      // 
v_accvgpr_read_b32 v14, acc51                      // 
v_accvgpr_read_b32 v18, acc83                      // 
v_accvgpr_read_b32 v22, acc115                     // 
v_accvgpr_read_b32 v26, acc147                     // 
v_accvgpr_read_b32 v30, acc179                     // 
v_accvgpr_read_b32 v34, acc211                     // 
v_accvgpr_read_b32 v38, acc243                     // 
v_accvgpr_read_b32 v11, acc16                      // 
v_accvgpr_read_b32 v15, acc48                      // 
v_accvgpr_read_b32 v19, acc80                      // 
v_accvgpr_read_b32 v23, acc112                     // 
v_accvgpr_read_b32 v27, acc144                     // 
v_accvgpr_read_b32 v31, acc176                     // 
v_accvgpr_read_b32 v35, acc208                     // 
v_accvgpr_read_b32 v39, acc240                     // 
s_nop 1                                            // v_accvgpr read vgpr after write vgpr: 2 wait states
ds_bpermute_b32 v11, v6, v11, offset:128           // permute edge values
ds_bpermute_b32 v15, v6, v15, offset:128           // permute edge values
	;; [unrolled: 1-line block ×8, first 2 shown]
s_waitcnt lgkmcnt(0)                               // wait for swizzle operation
s_mov_b32 s54, 0                                   // which thread need to shfit in this block
_v_cmpx_eq_u32 s[54:55], v7, s54                   // is thread in edge glvw region
s_nop 3                                            // wait for exec mask
v_accvgpr_write_b32 acc16, v8                      // 
v_accvgpr_write_b32 acc48, v12                     // 
v_accvgpr_write_b32 acc80, v16                     // 
v_accvgpr_write_b32 acc112, v20                    // 
v_accvgpr_write_b32 acc144, v24                    // 
v_accvgpr_write_b32 acc176, v28                    // 
v_accvgpr_write_b32 acc208, v32                    // 
v_accvgpr_write_b32 acc240, v36                    // 
v_accvgpr_write_b32 acc17, v9                      // 
v_accvgpr_write_b32 acc49, v13                     // 
v_accvgpr_write_b32 acc81, v17                     // 
v_accvgpr_write_b32 acc113, v21                    // 
v_accvgpr_write_b32 acc145, v25                    // 
v_accvgpr_write_b32 acc177, v29                    // 
v_accvgpr_write_b32 acc209, v33                    // 
v_accvgpr_write_b32 acc241, v37                    // 
v_accvgpr_write_b32 acc18, v10                     // 
v_accvgpr_write_b32 acc50, v14                     // 
v_accvgpr_write_b32 acc82, v18                     // 
v_accvgpr_write_b32 acc114, v22                    // 
v_accvgpr_write_b32 acc146, v26                    // 
v_accvgpr_write_b32 acc178, v30                    // 
v_accvgpr_write_b32 acc210, v34                    // 
v_accvgpr_write_b32 acc242, v38                    // 
v_accvgpr_write_b32 acc19, v11                     // 
v_accvgpr_write_b32 acc51, v15                     // 
v_accvgpr_write_b32 acc83, v19                     // 
v_accvgpr_write_b32 acc115, v23                    // 
v_accvgpr_write_b32 acc147, v27                    // 
v_accvgpr_write_b32 acc179, v31                    // 
v_accvgpr_write_b32 acc211, v35                    // 
v_accvgpr_write_b32 acc243, v39                    // 
s_mov_b64 s[54:55], 0xFFFFFFFFFFFFFFFF             // to restore all threads active
s_or_saveexec_b64 vcc, s[54:55]                    // all threads active
s_nop 3                                            // wait for exec mask
v_accvgpr_read_b32 v8, acc17                       // 
v_accvgpr_read_b32 v12, acc49                      // 
v_accvgpr_read_b32 v16, acc81                      // 
v_accvgpr_read_b32 v20, acc113                     // 
v_accvgpr_read_b32 v24, acc145                     // 
v_accvgpr_read_b32 v28, acc177                     // 
v_accvgpr_read_b32 v32, acc209                     // 
v_accvgpr_read_b32 v36, acc241                     // 
v_accvgpr_read_b32 v9, acc18                       // 
v_accvgpr_read_b32 v13, acc50                      // 
v_accvgpr_read_b32 v17, acc82                      // 
v_accvgpr_read_b32 v21, acc114                     // 
v_accvgpr_read_b32 v25, acc146                     // 
v_accvgpr_read_b32 v29, acc178                     // 
v_accvgpr_read_b32 v33, acc210                     // 
v_accvgpr_read_b32 v37, acc242                     // 
v_accvgpr_read_b32 v10, acc19                      // 
v_accvgpr_read_b32 v14, acc51                      // 
v_accvgpr_read_b32 v18, acc83                      // 
v_accvgpr_read_b32 v22, acc115                     // 
v_accvgpr_read_b32 v26, acc147                     // 
v_accvgpr_read_b32 v30, acc179                     // 
v_accvgpr_read_b32 v34, acc211                     // 
v_accvgpr_read_b32 v38, acc243                     // 
v_accvgpr_read_b32 v11, acc20                      // 
v_accvgpr_read_b32 v15, acc52                      // 
v_accvgpr_read_b32 v19, acc84                      // 
v_accvgpr_read_b32 v23, acc116                     // 
v_accvgpr_read_b32 v27, acc148                     // 
v_accvgpr_read_b32 v31, acc180                     // 
v_accvgpr_read_b32 v35, acc212                     // 
v_accvgpr_read_b32 v39, acc244                     // 
s_nop 1                                            // v_accvgpr read vgpr after write vgpr: 2 wait states
ds_bpermute_b32 v11, v6, v11, offset:128           // permute edge values
ds_bpermute_b32 v15, v6, v15, offset:128           // permute edge values
	;; [unrolled: 1-line block ×8, first 2 shown]
s_waitcnt lgkmcnt(0)                               // wait for swizzle operation
s_mov_b32 s54, 1                                   // which thread need to shfit in this block
_v_cmpx_eq_u32 s[54:55], v7, s54                   // is thread in edge glvw region
s_nop 3                                            // wait for exec mask
v_accvgpr_write_b32 acc16, v8                      // 
v_accvgpr_write_b32 acc48, v12                     // 
v_accvgpr_write_b32 acc80, v16                     // 
v_accvgpr_write_b32 acc112, v20                    // 
v_accvgpr_write_b32 acc144, v24                    // 
v_accvgpr_write_b32 acc176, v28                    // 
v_accvgpr_write_b32 acc208, v32                    // 
v_accvgpr_write_b32 acc240, v36                    // 
v_accvgpr_write_b32 acc17, v9                      // 
v_accvgpr_write_b32 acc49, v13                     // 
v_accvgpr_write_b32 acc81, v17                     // 
v_accvgpr_write_b32 acc113, v21                    // 
v_accvgpr_write_b32 acc145, v25                    // 
v_accvgpr_write_b32 acc177, v29                    // 
v_accvgpr_write_b32 acc209, v33                    // 
v_accvgpr_write_b32 acc241, v37                    // 
v_accvgpr_write_b32 acc18, v10                     // 
v_accvgpr_write_b32 acc50, v14                     // 
v_accvgpr_write_b32 acc82, v18                     // 
v_accvgpr_write_b32 acc114, v22                    // 
v_accvgpr_write_b32 acc146, v26                    // 
v_accvgpr_write_b32 acc178, v30                    // 
v_accvgpr_write_b32 acc210, v34                    // 
v_accvgpr_write_b32 acc242, v38                    // 
v_accvgpr_write_b32 acc19, v11                     // 
v_accvgpr_write_b32 acc51, v15                     // 
v_accvgpr_write_b32 acc83, v19                     // 
v_accvgpr_write_b32 acc115, v23                    // 
v_accvgpr_write_b32 acc147, v27                    // 
v_accvgpr_write_b32 acc179, v31                    // 
v_accvgpr_write_b32 acc211, v35                    // 
v_accvgpr_write_b32 acc243, v39                    // 
s_mov_b64 s[54:55], 0xFFFFFFFFFFFFFFFF             // to restore all threads active
s_or_saveexec_b64 vcc, s[54:55]                    // all threads active
s_nop 3                                            // wait for exec mask
v_accvgpr_read_b32 v8, acc21                       // 
v_accvgpr_read_b32 v12, acc53                      // 
v_accvgpr_read_b32 v16, acc85                      // 
v_accvgpr_read_b32 v20, acc117                     // 
v_accvgpr_read_b32 v24, acc149                     // 
v_accvgpr_read_b32 v28, acc181                     // 
v_accvgpr_read_b32 v32, acc213                     // 
v_accvgpr_read_b32 v36, acc245                     // 
v_accvgpr_read_b32 v9, acc22                       // 
v_accvgpr_read_b32 v13, acc54                      // 
v_accvgpr_read_b32 v17, acc86                      // 
v_accvgpr_read_b32 v21, acc118                     // 
v_accvgpr_read_b32 v25, acc150                     // 
v_accvgpr_read_b32 v29, acc182                     // 
v_accvgpr_read_b32 v33, acc214                     // 
v_accvgpr_read_b32 v37, acc246                     // 
v_accvgpr_read_b32 v10, acc23                      // 
v_accvgpr_read_b32 v14, acc55                      // 
v_accvgpr_read_b32 v18, acc87                      // 
v_accvgpr_read_b32 v22, acc119                     // 
v_accvgpr_read_b32 v26, acc151                     // 
v_accvgpr_read_b32 v30, acc183                     // 
v_accvgpr_read_b32 v34, acc215                     // 
v_accvgpr_read_b32 v38, acc247                     // 
v_accvgpr_read_b32 v11, acc20                      // 
v_accvgpr_read_b32 v15, acc52                      // 
v_accvgpr_read_b32 v19, acc84                      // 
v_accvgpr_read_b32 v23, acc116                     // 
v_accvgpr_read_b32 v27, acc148                     // 
v_accvgpr_read_b32 v31, acc180                     // 
v_accvgpr_read_b32 v35, acc212                     // 
v_accvgpr_read_b32 v39, acc244                     // 
s_nop 1                                            // v_accvgpr read vgpr after write vgpr: 2 wait states
ds_bpermute_b32 v11, v6, v11, offset:128           // permute edge values
ds_bpermute_b32 v15, v6, v15, offset:128           // permute edge values
	;; [unrolled: 1-line block ×8, first 2 shown]
s_waitcnt lgkmcnt(0)                               // wait for swizzle operation
s_mov_b32 s54, 0                                   // which thread need to shfit in this block
_v_cmpx_eq_u32 s[54:55], v7, s54                   // is thread in edge glvw region
s_nop 3                                            // wait for exec mask
v_accvgpr_write_b32 acc20, v8                      // 
v_accvgpr_write_b32 acc52, v12                     // 
v_accvgpr_write_b32 acc84, v16                     // 
v_accvgpr_write_b32 acc116, v20                    // 
v_accvgpr_write_b32 acc148, v24                    // 
v_accvgpr_write_b32 acc180, v28                    // 
v_accvgpr_write_b32 acc212, v32                    // 
v_accvgpr_write_b32 acc244, v36                    // 
v_accvgpr_write_b32 acc21, v9                      // 
v_accvgpr_write_b32 acc53, v13                     // 
v_accvgpr_write_b32 acc85, v17                     // 
v_accvgpr_write_b32 acc117, v21                    // 
v_accvgpr_write_b32 acc149, v25                    // 
v_accvgpr_write_b32 acc181, v29                    // 
v_accvgpr_write_b32 acc213, v33                    // 
v_accvgpr_write_b32 acc245, v37                    // 
v_accvgpr_write_b32 acc22, v10                     // 
v_accvgpr_write_b32 acc54, v14                     // 
v_accvgpr_write_b32 acc86, v18                     // 
v_accvgpr_write_b32 acc118, v22                    // 
v_accvgpr_write_b32 acc150, v26                    // 
v_accvgpr_write_b32 acc182, v30                    // 
v_accvgpr_write_b32 acc214, v34                    // 
v_accvgpr_write_b32 acc246, v38                    // 
v_accvgpr_write_b32 acc23, v11                     // 
v_accvgpr_write_b32 acc55, v15                     // 
v_accvgpr_write_b32 acc87, v19                     // 
v_accvgpr_write_b32 acc119, v23                    // 
v_accvgpr_write_b32 acc151, v27                    // 
v_accvgpr_write_b32 acc183, v31                    // 
v_accvgpr_write_b32 acc215, v35                    // 
v_accvgpr_write_b32 acc247, v39                    // 
s_mov_b64 s[54:55], 0xFFFFFFFFFFFFFFFF             // to restore all threads active
s_or_saveexec_b64 vcc, s[54:55]                    // all threads active
s_nop 3                                            // wait for exec mask
v_accvgpr_read_b32 v8, acc21                       // 
v_accvgpr_read_b32 v12, acc53                      // 
v_accvgpr_read_b32 v16, acc85                      // 
v_accvgpr_read_b32 v20, acc117                     // 
v_accvgpr_read_b32 v24, acc149                     // 
v_accvgpr_read_b32 v28, acc181                     // 
v_accvgpr_read_b32 v32, acc213                     // 
v_accvgpr_read_b32 v36, acc245                     // 
v_accvgpr_read_b32 v9, acc22                       // 
v_accvgpr_read_b32 v13, acc54                      // 
v_accvgpr_read_b32 v17, acc86                      // 
v_accvgpr_read_b32 v21, acc118                     // 
v_accvgpr_read_b32 v25, acc150                     // 
v_accvgpr_read_b32 v29, acc182                     // 
v_accvgpr_read_b32 v33, acc214                     // 
v_accvgpr_read_b32 v37, acc246                     // 
v_accvgpr_read_b32 v10, acc23                      // 
v_accvgpr_read_b32 v14, acc55                      // 
v_accvgpr_read_b32 v18, acc87                      // 
v_accvgpr_read_b32 v22, acc119                     // 
v_accvgpr_read_b32 v26, acc151                     // 
v_accvgpr_read_b32 v30, acc183                     // 
v_accvgpr_read_b32 v34, acc215                     // 
v_accvgpr_read_b32 v38, acc247                     // 
s_nop 1                                            // v_accvgpr read vgpr after write vgpr: 2 wait states
s_mov_b32 s54, 1                                   // which thread need to shfit in this block
_v_cmpx_eq_u32 s[54:55], v7, s54                   // is thread in edge glvw region
s_nop 3                                            // wait for exec mask
v_accvgpr_write_b32 acc20, v8                      // 
v_accvgpr_write_b32 acc52, v12                     // 
v_accvgpr_write_b32 acc84, v16                     // 
v_accvgpr_write_b32 acc116, v20                    // 
v_accvgpr_write_b32 acc148, v24                    // 
v_accvgpr_write_b32 acc180, v28                    // 
v_accvgpr_write_b32 acc212, v32                    // 
v_accvgpr_write_b32 acc244, v36                    // 
v_accvgpr_write_b32 acc21, v9                      // 
v_accvgpr_write_b32 acc53, v13                     // 
v_accvgpr_write_b32 acc85, v17                     // 
v_accvgpr_write_b32 acc117, v21                    // 
v_accvgpr_write_b32 acc149, v25                    // 
v_accvgpr_write_b32 acc181, v29                    // 
v_accvgpr_write_b32 acc213, v33                    // 
v_accvgpr_write_b32 acc245, v37                    // 
v_accvgpr_write_b32 acc22, v10                     // 
v_accvgpr_write_b32 acc54, v14                     // 
v_accvgpr_write_b32 acc86, v18                     // 
v_accvgpr_write_b32 acc118, v22                    // 
v_accvgpr_write_b32 acc150, v26                    // 
v_accvgpr_write_b32 acc182, v30                    // 
v_accvgpr_write_b32 acc214, v34                    // 
v_accvgpr_write_b32 acc246, v38                    // 
s_mov_b64 s[54:55], 0xFFFFFFFFFFFFFFFF             // to restore all threads active
s_or_saveexec_b64 vcc, s[54:55]                    // all threads active
s_nop 3                                            // wait for exec mask
s_branch label_0106                                // done

/******************************************/
/* shift d0 shift=15 glvwblk=1            */
/******************************************/
label_0105:
v_and_b32 v6, 63, v[vgprSerial]                    // permute register between threads
v_lshlrev_b32 v6, 0x2, v6                          // permute register between threads
v_lshrrev_b32 v0, 5, v[vgprSerial]                 // v0 = v[vgprSerial] / 32
v_and_b32 v7, 1, v0                                // v7 = v0 % 2
v_accvgpr_read_b32 v8, acc25                       // 
v_accvgpr_read_b32 v12, acc57                      // 
v_accvgpr_read_b32 v16, acc89                      // 
v_accvgpr_read_b32 v20, acc121                     // 
v_accvgpr_read_b32 v24, acc153                     // 
v_accvgpr_read_b32 v28, acc185                     // 
v_accvgpr_read_b32 v32, acc217                     // 
v_accvgpr_read_b32 v36, acc249                     // 
v_accvgpr_read_b32 v9, acc26                       // 
v_accvgpr_read_b32 v13, acc58                      // 
v_accvgpr_read_b32 v17, acc90                      // 
v_accvgpr_read_b32 v21, acc122                     // 
v_accvgpr_read_b32 v25, acc154                     // 
v_accvgpr_read_b32 v29, acc186                     // 
v_accvgpr_read_b32 v33, acc218                     // 
v_accvgpr_read_b32 v37, acc250                     // 
v_accvgpr_read_b32 v10, acc27                      // 
v_accvgpr_read_b32 v14, acc59                      // 
v_accvgpr_read_b32 v18, acc91                      // 
v_accvgpr_read_b32 v22, acc123                     // 
v_accvgpr_read_b32 v26, acc155                     // 
v_accvgpr_read_b32 v30, acc187                     // 
v_accvgpr_read_b32 v34, acc219                     // 
v_accvgpr_read_b32 v38, acc251                     // 
v_accvgpr_read_b32 v11, acc24                      // 
v_accvgpr_read_b32 v15, acc56                      // 
v_accvgpr_read_b32 v19, acc88                      // 
v_accvgpr_read_b32 v23, acc120                     // 
v_accvgpr_read_b32 v27, acc152                     // 
v_accvgpr_read_b32 v31, acc184                     // 
v_accvgpr_read_b32 v35, acc216                     // 
v_accvgpr_read_b32 v39, acc248                     // 
s_nop 1                                            // v_accvgpr read vgpr after write vgpr: 2 wait states
ds_bpermute_b32 v11, v6, v11, offset:128           // permute edge values
ds_bpermute_b32 v15, v6, v15, offset:128           // permute edge values
	;; [unrolled: 1-line block ×8, first 2 shown]
s_waitcnt lgkmcnt(0)                               // wait for swizzle operation
s_mov_b32 s54, 0                                   // which thread need to shfit in this block
_v_cmpx_eq_u32 s[54:55], v7, s54                   // is thread in edge glvw region
s_nop 3                                            // wait for exec mask
v_accvgpr_write_b32 acc24, v8                      // 
v_accvgpr_write_b32 acc56, v12                     // 
v_accvgpr_write_b32 acc88, v16                     // 
v_accvgpr_write_b32 acc120, v20                    // 
v_accvgpr_write_b32 acc152, v24                    // 
v_accvgpr_write_b32 acc184, v28                    // 
v_accvgpr_write_b32 acc216, v32                    // 
v_accvgpr_write_b32 acc248, v36                    // 
v_accvgpr_write_b32 acc25, v9                      // 
v_accvgpr_write_b32 acc57, v13                     // 
v_accvgpr_write_b32 acc89, v17                     // 
v_accvgpr_write_b32 acc121, v21                    // 
v_accvgpr_write_b32 acc153, v25                    // 
v_accvgpr_write_b32 acc185, v29                    // 
v_accvgpr_write_b32 acc217, v33                    // 
v_accvgpr_write_b32 acc249, v37                    // 
v_accvgpr_write_b32 acc26, v10                     // 
v_accvgpr_write_b32 acc58, v14                     // 
v_accvgpr_write_b32 acc90, v18                     // 
v_accvgpr_write_b32 acc122, v22                    // 
v_accvgpr_write_b32 acc154, v26                    // 
v_accvgpr_write_b32 acc186, v30                    // 
v_accvgpr_write_b32 acc218, v34                    // 
v_accvgpr_write_b32 acc250, v38                    // 
v_accvgpr_write_b32 acc27, v11                     // 
v_accvgpr_write_b32 acc59, v15                     // 
v_accvgpr_write_b32 acc91, v19                     // 
v_accvgpr_write_b32 acc123, v23                    // 
v_accvgpr_write_b32 acc155, v27                    // 
v_accvgpr_write_b32 acc187, v31                    // 
v_accvgpr_write_b32 acc219, v35                    // 
v_accvgpr_write_b32 acc251, v39                    // 
s_mov_b64 s[54:55], 0xFFFFFFFFFFFFFFFF             // to restore all threads active
s_or_saveexec_b64 vcc, s[54:55]                    // all threads active
s_nop 3                                            // wait for exec mask
v_accvgpr_read_b32 v8, acc25                       // 
v_accvgpr_read_b32 v12, acc57                      // 
v_accvgpr_read_b32 v16, acc89                      // 
v_accvgpr_read_b32 v20, acc121                     // 
v_accvgpr_read_b32 v24, acc153                     // 
v_accvgpr_read_b32 v28, acc185                     // 
v_accvgpr_read_b32 v32, acc217                     // 
v_accvgpr_read_b32 v36, acc249                     // 
v_accvgpr_read_b32 v9, acc26                       // 
v_accvgpr_read_b32 v13, acc58                      // 
v_accvgpr_read_b32 v17, acc90                      // 
v_accvgpr_read_b32 v21, acc122                     // 
v_accvgpr_read_b32 v25, acc154                     // 
v_accvgpr_read_b32 v29, acc186                     // 
v_accvgpr_read_b32 v33, acc218                     // 
v_accvgpr_read_b32 v37, acc250                     // 
v_accvgpr_read_b32 v10, acc27                      // 
v_accvgpr_read_b32 v14, acc59                      // 
v_accvgpr_read_b32 v18, acc91                      // 
v_accvgpr_read_b32 v22, acc123                     // 
v_accvgpr_read_b32 v26, acc155                     // 
v_accvgpr_read_b32 v30, acc187                     // 
v_accvgpr_read_b32 v34, acc219                     // 
v_accvgpr_read_b32 v38, acc251                     // 
v_accvgpr_read_b32 v11, acc28                      // 
v_accvgpr_read_b32 v15, acc60                      // 
v_accvgpr_read_b32 v19, acc92                      // 
v_accvgpr_read_b32 v23, acc124                     // 
v_accvgpr_read_b32 v27, acc156                     // 
v_accvgpr_read_b32 v31, acc188                     // 
v_accvgpr_read_b32 v35, acc220                     // 
v_accvgpr_read_b32 v39, acc252                     // 
s_nop 1                                            // v_accvgpr read vgpr after write vgpr: 2 wait states
ds_bpermute_b32 v11, v6, v11, offset:128           // permute edge values
ds_bpermute_b32 v15, v6, v15, offset:128           // permute edge values
	;; [unrolled: 1-line block ×8, first 2 shown]
s_waitcnt lgkmcnt(0)                               // wait for swizzle operation
s_mov_b32 s54, 1                                   // which thread need to shfit in this block
_v_cmpx_eq_u32 s[54:55], v7, s54                   // is thread in edge glvw region
s_nop 3                                            // wait for exec mask
v_accvgpr_write_b32 acc24, v8                      // 
v_accvgpr_write_b32 acc56, v12                     // 
v_accvgpr_write_b32 acc88, v16                     // 
v_accvgpr_write_b32 acc120, v20                    // 
v_accvgpr_write_b32 acc152, v24                    // 
v_accvgpr_write_b32 acc184, v28                    // 
v_accvgpr_write_b32 acc216, v32                    // 
v_accvgpr_write_b32 acc248, v36                    // 
v_accvgpr_write_b32 acc25, v9                      // 
v_accvgpr_write_b32 acc57, v13                     // 
v_accvgpr_write_b32 acc89, v17                     // 
v_accvgpr_write_b32 acc121, v21                    // 
v_accvgpr_write_b32 acc153, v25                    // 
v_accvgpr_write_b32 acc185, v29                    // 
v_accvgpr_write_b32 acc217, v33                    // 
v_accvgpr_write_b32 acc249, v37                    // 
v_accvgpr_write_b32 acc26, v10                     // 
v_accvgpr_write_b32 acc58, v14                     // 
v_accvgpr_write_b32 acc90, v18                     // 
v_accvgpr_write_b32 acc122, v22                    // 
v_accvgpr_write_b32 acc154, v26                    // 
v_accvgpr_write_b32 acc186, v30                    // 
v_accvgpr_write_b32 acc218, v34                    // 
v_accvgpr_write_b32 acc250, v38                    // 
v_accvgpr_write_b32 acc27, v11                     // 
v_accvgpr_write_b32 acc59, v15                     // 
v_accvgpr_write_b32 acc91, v19                     // 
v_accvgpr_write_b32 acc123, v23                    // 
v_accvgpr_write_b32 acc155, v27                    // 
v_accvgpr_write_b32 acc187, v31                    // 
v_accvgpr_write_b32 acc219, v35                    // 
v_accvgpr_write_b32 acc251, v39                    // 
s_mov_b64 s[54:55], 0xFFFFFFFFFFFFFFFF             // to restore all threads active
s_or_saveexec_b64 vcc, s[54:55]                    // all threads active
s_nop 3                                            // wait for exec mask
v_accvgpr_read_b32 v8, acc29                       // 
v_accvgpr_read_b32 v12, acc61                      // 
v_accvgpr_read_b32 v16, acc93                      // 
v_accvgpr_read_b32 v20, acc125                     // 
v_accvgpr_read_b32 v24, acc157                     // 
v_accvgpr_read_b32 v28, acc189                     // 
v_accvgpr_read_b32 v32, acc221                     // 
v_accvgpr_read_b32 v36, acc253                     // 
v_accvgpr_read_b32 v9, acc30                       // 
v_accvgpr_read_b32 v13, acc62                      // 
v_accvgpr_read_b32 v17, acc94                      // 
v_accvgpr_read_b32 v21, acc126                     // 
v_accvgpr_read_b32 v25, acc158                     // 
v_accvgpr_read_b32 v29, acc190                     // 
v_accvgpr_read_b32 v33, acc222                     // 
v_accvgpr_read_b32 v37, acc254                     // 
v_accvgpr_read_b32 v10, acc31                      // 
v_accvgpr_read_b32 v14, acc63                      // 
v_accvgpr_read_b32 v18, acc95                      // 
v_accvgpr_read_b32 v22, acc127                     // 
v_accvgpr_read_b32 v26, acc159                     // 
v_accvgpr_read_b32 v30, acc191                     // 
v_accvgpr_read_b32 v34, acc223                     // 
v_accvgpr_read_b32 v38, acc255                     // 
v_accvgpr_read_b32 v11, acc28                      // 
v_accvgpr_read_b32 v15, acc60                      // 
v_accvgpr_read_b32 v19, acc92                      // 
v_accvgpr_read_b32 v23, acc124                     // 
v_accvgpr_read_b32 v27, acc156                     // 
v_accvgpr_read_b32 v31, acc188                     // 
v_accvgpr_read_b32 v35, acc220                     // 
v_accvgpr_read_b32 v39, acc252                     // 
s_nop 1                                            // v_accvgpr read vgpr after write vgpr: 2 wait states
ds_bpermute_b32 v11, v6, v11, offset:128           // permute edge values
ds_bpermute_b32 v15, v6, v15, offset:128           // permute edge values
	;; [unrolled: 1-line block ×8, first 2 shown]
s_waitcnt lgkmcnt(0)                               // wait for swizzle operation
s_mov_b32 s54, 0                                   // which thread need to shfit in this block
_v_cmpx_eq_u32 s[54:55], v7, s54                   // is thread in edge glvw region
s_nop 3                                            // wait for exec mask
v_accvgpr_write_b32 acc28, v8                      // 
v_accvgpr_write_b32 acc60, v12                     // 
v_accvgpr_write_b32 acc92, v16                     // 
v_accvgpr_write_b32 acc124, v20                    // 
v_accvgpr_write_b32 acc156, v24                    // 
v_accvgpr_write_b32 acc188, v28                    // 
v_accvgpr_write_b32 acc220, v32                    // 
v_accvgpr_write_b32 acc252, v36                    // 
v_accvgpr_write_b32 acc29, v9                      // 
v_accvgpr_write_b32 acc61, v13                     // 
v_accvgpr_write_b32 acc93, v17                     // 
v_accvgpr_write_b32 acc125, v21                    // 
v_accvgpr_write_b32 acc157, v25                    // 
v_accvgpr_write_b32 acc189, v29                    // 
v_accvgpr_write_b32 acc221, v33                    // 
v_accvgpr_write_b32 acc253, v37                    // 
v_accvgpr_write_b32 acc30, v10                     // 
v_accvgpr_write_b32 acc62, v14                     // 
v_accvgpr_write_b32 acc94, v18                     // 
v_accvgpr_write_b32 acc126, v22                    // 
v_accvgpr_write_b32 acc158, v26                    // 
v_accvgpr_write_b32 acc190, v30                    // 
v_accvgpr_write_b32 acc222, v34                    // 
v_accvgpr_write_b32 acc254, v38                    // 
v_accvgpr_write_b32 acc31, v11                     // 
v_accvgpr_write_b32 acc63, v15                     // 
v_accvgpr_write_b32 acc95, v19                     // 
v_accvgpr_write_b32 acc127, v23                    // 
v_accvgpr_write_b32 acc159, v27                    // 
v_accvgpr_write_b32 acc191, v31                    // 
v_accvgpr_write_b32 acc223, v35                    // 
v_accvgpr_write_b32 acc255, v39                    // 
s_mov_b64 s[54:55], 0xFFFFFFFFFFFFFFFF             // to restore all threads active
s_or_saveexec_b64 vcc, s[54:55]                    // all threads active
s_nop 3                                            // wait for exec mask
v_accvgpr_read_b32 v8, acc29                       // 
v_accvgpr_read_b32 v12, acc61                      // 
v_accvgpr_read_b32 v16, acc93                      // 
v_accvgpr_read_b32 v20, acc125                     // 
v_accvgpr_read_b32 v24, acc157                     // 
v_accvgpr_read_b32 v28, acc189                     // 
v_accvgpr_read_b32 v32, acc221                     // 
v_accvgpr_read_b32 v36, acc253                     // 
v_accvgpr_read_b32 v9, acc30                       // 
v_accvgpr_read_b32 v13, acc62                      // 
v_accvgpr_read_b32 v17, acc94                      // 
v_accvgpr_read_b32 v21, acc126                     // 
v_accvgpr_read_b32 v25, acc158                     // 
v_accvgpr_read_b32 v29, acc190                     // 
v_accvgpr_read_b32 v33, acc222                     // 
v_accvgpr_read_b32 v37, acc254                     // 
v_accvgpr_read_b32 v10, acc31                      // 
v_accvgpr_read_b32 v14, acc63                      // 
v_accvgpr_read_b32 v18, acc95                      // 
v_accvgpr_read_b32 v22, acc127                     // 
v_accvgpr_read_b32 v26, acc159                     // 
v_accvgpr_read_b32 v30, acc191                     // 
v_accvgpr_read_b32 v34, acc223                     // 
v_accvgpr_read_b32 v38, acc255                     // 
s_nop 1                                            // v_accvgpr read vgpr after write vgpr: 2 wait states
s_mov_b32 s54, 1                                   // which thread need to shfit in this block
_v_cmpx_eq_u32 s[54:55], v7, s54                   // is thread in edge glvw region
s_nop 3                                            // wait for exec mask
v_accvgpr_write_b32 acc28, v8                      // 
v_accvgpr_write_b32 acc60, v12                     // 
v_accvgpr_write_b32 acc92, v16                     // 
v_accvgpr_write_b32 acc124, v20                    // 
v_accvgpr_write_b32 acc156, v24                    // 
v_accvgpr_write_b32 acc188, v28                    // 
v_accvgpr_write_b32 acc220, v32                    // 
v_accvgpr_write_b32 acc252, v36                    // 
v_accvgpr_write_b32 acc29, v9                      // 
v_accvgpr_write_b32 acc61, v13                     // 
v_accvgpr_write_b32 acc93, v17                     // 
v_accvgpr_write_b32 acc125, v21                    // 
v_accvgpr_write_b32 acc157, v25                    // 
v_accvgpr_write_b32 acc189, v29                    // 
v_accvgpr_write_b32 acc221, v33                    // 
v_accvgpr_write_b32 acc253, v37                    // 
v_accvgpr_write_b32 acc30, v10                     // 
v_accvgpr_write_b32 acc62, v14                     // 
v_accvgpr_write_b32 acc94, v18                     // 
v_accvgpr_write_b32 acc126, v22                    // 
v_accvgpr_write_b32 acc158, v26                    // 
v_accvgpr_write_b32 acc190, v30                    // 
v_accvgpr_write_b32 acc222, v34                    // 
v_accvgpr_write_b32 acc254, v38                    // 
s_mov_b64 s[54:55], 0xFFFFFFFFFFFFFFFF             // to restore all threads active
s_or_saveexec_b64 vcc, s[54:55]                    // all threads active
s_nop 3                                            // wait for exec mask
s_branch label_0106                                // done
label_0106: // end shift0



/* not-LocalSplitU: global write indices */

/* computeStoreVgprs */
v_lshrrev_b32 v4, 6, v[vgprSerial]                 // v4 = v[vgprSerial] / 64
v_lshrrev_b32 v1, 2, v4                            // v1 = v4 / 4
v_mul_lo_u32 v1, 0x20, v1                          // wave coordination offset 1
v_and_b32 v5, 31, v[vgprSerial]                    // v5 = v[vgprSerial] % 32
_v_add_lshl_u32 v1, v5, v1, 0                      // coordination 1 = vwb *(wave_id1 + tid1)
v_mul_lo_u32 v2, v1, s[sgprStrideC1J]              //  offset 1
v_mul_lo_u32 v3, v1, s[sgprStrideD1J]              //  offset 1
v_and_b32 v0, 63, v[vgprSerial]                    // v0 = v[vgprSerial] % 64
v_lshrrev_b32 v0, 5, v0                            // v0 = v0 / 32
v_lshlrev_b32 v0, 0x2, v0                          // thread0 * continuous_output
v_and_b32 v5, 3, v4                                // v5 = v4 % 4
v_mul_lo_u32 v5, 0x20, v5                          // wave coordination offset 0
_v_add_lshl_u32 v0, v5, v0, 0                      // coordination 0 = vwa *(wave_id0 + tid0)
s_mul_i32 s53, 256, s[sgprWorkGroup0]              // wgp0 * MT0
_v_add_u32 v0, s53, v0                             // coord 0 = (tid0/MI_m)*4 + waveG0*MIB_m + MT0*SG0
s_mul_i32 s53, 256, s[sgprWorkGroup1]              // wgp1 * MT1
_v_add_u32 v1, s53, v1                             // coord 1 = (tid0%MI_m) + waveG1*MIB_n + MT1*SG1
/* Store Remap Local Write address */
v_lshrrev_b32 v5, 8, v[vgprSerial]                 // v5 = v[vgprSerial] / 256
v_and_b32 v4, 255, v[vgprSerial]                   // v4 = v[vgprSerial] % 256
v_mul_lo_u32 v13, 0x20, v5                         // coord1 offset of LDS for each Wave
v_and_b32 v5, 0x1f, v[vgprSerial]                  // coord1 offset of LDS for each thread
_v_add_u32 v5, v13, v5                             // coord1 offset in MacroTile
v_mov_b32 v11, 0x110                               // lds stride = MT0 + PAD
v_mul_lo_u32 v9, v5, v11                           // lds coord1 offset = Col-id* lds stride
v_lshrrev_b32 v10, 6, v4                           // v10 = v4 / 64
v_and_b32 v4, 63, v4                               // v4 = v4 % 64
v_lshrrev_b32 v12, 0x5, v4                         // tid / matrixInstN
v_lshlrev_b32 v12, 0x2, v12                        // lds coord0 offset *= 4 (each thread hold 4 element)
v_mad_u32_u24 v12, 32, v10, v12                    // coord0 += waveCoord0 * wave M shape(blockM*MiM)
_v_add_lshl_u32 v7, v9, v12, 0x0                   // local write C address

/* Store Remap Local Read address */
v_lshrrev_b32 v5, 6, v[vgprSerial]                 // v5 = v[vgprSerial] / 64
v_and_b32 v4, 63, v[vgprSerial]                    // v4 = v[vgprSerial] % 64
v_mul_lo_u32 v13, 0x8, v5                          // coord1 offset of LDS for each Wave
v_lshrrev_b32 v10, 0x4, v4                         // tid / nThreadPerCol
_v_add_u32 v6, v13, v10                            // coord1 offset in MacroTile
v_mul_lo_u32 v9, v6, v11                           // lds coord1 offset = Col-id* lds stride
v_and_b32 v12, 0xf, v4                             // coord0 offset of LDS for each thread
v_lshlrev_b32 v12, 0x4, v12                        // lds coord0 offset *= gwvw (each thread hold gwvw element)
_v_add_lshl_u32 v8, v9, v12, 0x0                   // local read C address

/* Store Remap global write coord0 and coord1 */
v_lshrrev_b32 v5, 8, v[vgprSerial]                 // v5 = v[vgprSerial] / 256
v_and_b32 v4, 255, v[vgprSerial]                   // v4 = v[vgprSerial] % 256
v_mul_lo_u32 v13, 0x20, v5                         // coord1 offset of global memory for each Wave
v_lshrrev_b32 v5, 6, v4                            // v5 = v4 / 64
v_and_b32 v4, 63, v4                               // v4 = v4 % 64
v_mad_u32_u24 v13, 8, v5, v13                      // waveCoord1 += waveCoord0 * MiN / WaveGroupM
v_lshrrev_b32 v10, 0x4, v4                         // tid / nThreadPerCol
_v_add_u32 v6, v13, v10                            // coord1 offset in MacroTile
s_mul_i32 s54, 0x100, s[sgprWorkGroup0]            // s54 = wg0*MT0
_v_add_co_u32 v4, vcc, s54, v12                    // coord0 = coord0 + wg0 * MT0
s_mul_i32 s55, MT1, s[sgprWorkGroup1]              // <- wg1*MT1
_v_add_co_u32 v5, vcc, s55, v6                     // coord1 = tid1*VW + wg1*MT1

// Skip force waitcnt0
s_barrier //StoreRemap Start


/* not-LocalSplitU: global write */

s_cmpk_eq_u32 s[sgprBeta], 0x0                     // Beta == 0
s_cbranch_scc0 GW_Beta_125                         // Branch if Beta is not zero

s_and_b32 s54, 255, s[sgprSizeI]                   // s54 = s[sgprSizeI] % 256
s_add_u32 s55, -0x1, s[sgprNumWorkGroups0]         // 
s_cmp_ge_u32 s[sgprWorkGroup0], s55                // wg0 >= nwg0-1 ?
s_cselect_b32 s54, s54, 0                          // set rMT0
s_cmpk_gt_u32 s54, 0x0                             // rMT0 > 0
s_cbranch_scc1 GW_B0_E1_116                        // jump if edges required
s_and_b32 s54, 255, s[sgprSizeJ]                   // s54 = s[sgprSizeJ] % 256
s_add_u32 s55, -0x1, s[sgprNumWorkGroups1]         // 
s_cmp_ge_u32 s[sgprWorkGroup1], s55                // wg1 >= nwg1-1
s_cselect_b32 s54, s54, 0                          // set rMT1
s_cmpk_gt_u32 s54, 0x0                             // rMT1 > 0
s_cbranch_scc1 GW_B0_E1_116                        // jump if edges required
GW_B0_E0_113:

/* edge=0, allocate 2 sgpr. perBatchTmpS=2 perBatchMaskS=0 perElementMaskS=0 elementsPerBatch=8 */
/* optSingleColVgpr=1 optSharedColVgpr=0 optSGPRUsage=BufferLoad_Mask optSrdIncForRow=1 */

/******************************************/
/* Global Write Alpha Batch #0 (d1,d0,vc1,vc0) = */
/*    (0,0,0,0:vw4); (0,1,0,0:vw4); (0,2,0,0:vw4); (0,3,0,0:vw4); (0,4,0,0:vw4); (0,5,0,0:vw4); (0,6,0,0:vw4); (0,7,0,0:vw4) */
/******************************************/

/* calc coords, apply mask, and issue loads (if necessary) */
/* (d1,vc1,d0,vc0)=(0,0,0,0) */
/* (d1,vc1,d0,vc0)=(0,0,1,0) */
	;; [unrolled: 1-line block ×8, first 2 shown]
_v_add_lshl_u32 v9, v3, v0, 0x0                    // optSingleColVgpr scaleToBpe: sharedAddrVgpr <- cinRowPtr + coord0, scaled by BPE. BSHERE:coord0=0, coord0Vgpr=0
v_accvgpr_read_b32 v[vgprValuC+20], acc0 // copy acc to vreg[0]
v_accvgpr_read_b32 v[vgprValuC+21], acc1 // copy acc to vreg[1]
v_accvgpr_read_b32 v[vgprValuC+22], acc2 // copy acc to vreg[2]
v_accvgpr_read_b32 v[vgprValuC+23], acc3 // copy acc to vreg[3]
v_accvgpr_read_b32 v[vgprValuC+24], acc4 // copy acc to vreg[4]
v_accvgpr_read_b32 v[vgprValuC+25], acc5 // copy acc to vreg[5]
v_accvgpr_read_b32 v[vgprValuC+26], acc6 // copy acc to vreg[6]
v_accvgpr_read_b32 v[vgprValuC+27], acc7 // copy acc to vreg[7]
v_accvgpr_read_b32 v[vgprValuC+28], acc8 // copy acc to vreg[8]
v_accvgpr_read_b32 v[vgprValuC+29], acc9 // copy acc to vreg[9]
v_accvgpr_read_b32 v[vgprValuC+30], acc10 // copy acc to vreg[10]
v_accvgpr_read_b32 v[vgprValuC+31], acc11 // copy acc to vreg[11]
v_accvgpr_read_b32 v[vgprValuC+32], acc12 // copy acc to vreg[12]
v_accvgpr_read_b32 v[vgprValuC+33], acc13 // copy acc to vreg[13]
v_accvgpr_read_b32 v[vgprValuC+34], acc14 // copy acc to vreg[14]
v_accvgpr_read_b32 v[vgprValuC+35], acc15 // copy acc to vreg[15]
v_accvgpr_read_b32 v[vgprValuC+36], acc16 // copy acc to vreg[16]
v_accvgpr_read_b32 v[vgprValuC+37], acc17 // copy acc to vreg[17]
v_accvgpr_read_b32 v[vgprValuC+38], acc18 // copy acc to vreg[18]
v_accvgpr_read_b32 v[vgprValuC+39], acc19 // copy acc to vreg[19]
v_accvgpr_read_b32 v[vgprValuC+40], acc20 // copy acc to vreg[20]
v_accvgpr_read_b32 v[vgprValuC+41], acc21 // copy acc to vreg[21]
v_accvgpr_read_b32 v[vgprValuC+42], acc22 // copy acc to vreg[22]
v_accvgpr_read_b32 v[vgprValuC+43], acc23 // copy acc to vreg[23]
v_accvgpr_read_b32 v[vgprValuC+44], acc24 // copy acc to vreg[24]
v_accvgpr_read_b32 v[vgprValuC+45], acc25 // copy acc to vreg[25]
v_accvgpr_read_b32 v[vgprValuC+46], acc26 // copy acc to vreg[26]
v_accvgpr_read_b32 v[vgprValuC+47], acc27 // copy acc to vreg[27]
v_accvgpr_read_b32 v[vgprValuC+48], acc28 // copy acc to vreg[28]
v_accvgpr_read_b32 v[vgprValuC+49], acc29 // copy acc to vreg[29]
v_accvgpr_read_b32 v[vgprValuC+50], acc30 // copy acc to vreg[30]
v_accvgpr_read_b32 v[vgprValuC+51], acc31 // copy acc to vreg[31]
s_nop 1                                            // 2 wait states required before reading vgpr

/* rC *= alpha batchElements=[(0, 0, 0, 0), (0, 1, 0, 0), (0, 2, 0, 0), (0, 3, 0, 0), (0, 4, 0, 0), (0, 5, 0, 0), (0, 6, 0, 0), (0, 7, 0, 0)] */
v_mul_f32 v[vgprValuC+20], s[sgprAlpha], v[vgprValuC+20] // *= alpha
v_mul_f32 v[vgprValuC+21], s[sgprAlpha], v[vgprValuC+21] // *= alpha
	;; [unrolled: 1-line block ×32, first 2 shown]

/* apply mask, calc new C and issue writes */
v_mov_b32 v16, 0x207                               // flag for Nan and +/- inf
v_mov_b32 v14, 0x43700000                          // save 240.0f as max for clipping
v_mov_b32 v15, 0xC3700000                          // save -240.0f as min for clipping
v_cmp_class_f32 s[54:55], v[vgprValuC+20], v16     // check NaN and +/-INF
v_med3_f32 v12, v[vgprValuC+20], v14, v15          // Clipping f32 value if exceeds the limit
v_cndmask_b32 v12, v12, v[vgprValuC+20], s[54:55]  // 
v_cmp_class_f32 s[54:55], v[vgprValuC+21], v16     // check NaN and +/-INF
v_med3_f32 v13, v[vgprValuC+21], v14, v15          // Clipping f32 value if exceeds the limit
v_cndmask_b32 v13, v13, v[vgprValuC+21], s[54:55]  // 
v_cvt_pk_fp8_f32  v20, v12, v13 op_sel:[0,0,0]     // convert two f32 accumulated values to fp8 and save it to lo_16[0:15]
v_cmp_class_f32 s[54:55], v[vgprValuC+22], v16     // check NaN and +/-INF
v_med3_f32 v12, v[vgprValuC+22], v14, v15          // Clipping f32 value if exceeds the limit
v_cndmask_b32 v12, v12, v[vgprValuC+22], s[54:55]  // 
v_cmp_class_f32 s[54:55], v[vgprValuC+23], v16     // check NaN and +/-INF
v_med3_f32 v13, v[vgprValuC+23], v14, v15          // Clipping f32 value if exceeds the limit
v_cndmask_b32 v13, v13, v[vgprValuC+23], s[54:55]  // 
v_cvt_pk_fp8_f32  v20, v12, v13 op_sel:[0,0,1]     // convert two f32 accumulated values to fp8 and save it to hi_16[16:31]
_ds_store_b32 v7, v20, offset:0                    // storeRemap lw
v_cmp_class_f32 s[54:55], v[vgprValuC+24], v16     // check NaN and +/-INF
v_med3_f32 v12, v[vgprValuC+24], v14, v15          // Clipping f32 value if exceeds the limit
v_cndmask_b32 v12, v12, v[vgprValuC+24], s[54:55]  // 
v_cmp_class_f32 s[54:55], v[vgprValuC+25], v16     // check NaN and +/-INF
v_med3_f32 v13, v[vgprValuC+25], v14, v15          // Clipping f32 value if exceeds the limit
v_cndmask_b32 v13, v13, v[vgprValuC+25], s[54:55]  // 
v_cvt_pk_fp8_f32  v24, v12, v13 op_sel:[0,0,0]     // convert two f32 accumulated values to fp8 and save it to lo_16[0:15]
v_cmp_class_f32 s[54:55], v[vgprValuC+26], v16     // check NaN and +/-INF
v_med3_f32 v12, v[vgprValuC+26], v14, v15          // Clipping f32 value if exceeds the limit
v_cndmask_b32 v12, v12, v[vgprValuC+26], s[54:55]  // 
v_cmp_class_f32 s[54:55], v[vgprValuC+27], v16     // check NaN and +/-INF
v_med3_f32 v13, v[vgprValuC+27], v14, v15          // Clipping f32 value if exceeds the limit
v_cndmask_b32 v13, v13, v[vgprValuC+27], s[54:55]  // 
v_cvt_pk_fp8_f32  v24, v12, v13 op_sel:[0,0,1]     // convert two f32 accumulated values to fp8 and save it to hi_16[16:31]
_ds_store_b32 v7, v24, offset:8                    // storeRemap lw
v_cmp_class_f32 s[54:55], v[vgprValuC+28], v16     // check NaN and +/-INF
v_med3_f32 v12, v[vgprValuC+28], v14, v15          // Clipping f32 value if exceeds the limit
v_cndmask_b32 v12, v12, v[vgprValuC+28], s[54:55]  // 
v_cmp_class_f32 s[54:55], v[vgprValuC+29], v16     // check NaN and +/-INF
v_med3_f32 v13, v[vgprValuC+29], v14, v15          // Clipping f32 value if exceeds the limit
v_cndmask_b32 v13, v13, v[vgprValuC+29], s[54:55]  // 
v_cvt_pk_fp8_f32  v28, v12, v13 op_sel:[0,0,0]     // convert two f32 accumulated values to fp8 and save it to lo_16[0:15]
v_cmp_class_f32 s[54:55], v[vgprValuC+30], v16     // check NaN and +/-INF
v_med3_f32 v12, v[vgprValuC+30], v14, v15          // Clipping f32 value if exceeds the limit
v_cndmask_b32 v12, v12, v[vgprValuC+30], s[54:55]  // 
v_cmp_class_f32 s[54:55], v[vgprValuC+31], v16     // check NaN and +/-INF
v_med3_f32 v13, v[vgprValuC+31], v14, v15          // Clipping f32 value if exceeds the limit
v_cndmask_b32 v13, v13, v[vgprValuC+31], s[54:55]  // 
v_cvt_pk_fp8_f32  v28, v12, v13 op_sel:[0,0,1]     // convert two f32 accumulated values to fp8 and save it to hi_16[16:31]
_ds_store_b32 v7, v28, offset:16                   // storeRemap lw
v_cmp_class_f32 s[54:55], v[vgprValuC+32], v16     // check NaN and +/-INF
v_med3_f32 v12, v[vgprValuC+32], v14, v15          // Clipping f32 value if exceeds the limit
v_cndmask_b32 v12, v12, v[vgprValuC+32], s[54:55]  // 
v_cmp_class_f32 s[54:55], v[vgprValuC+33], v16     // check NaN and +/-INF
v_med3_f32 v13, v[vgprValuC+33], v14, v15          // Clipping f32 value if exceeds the limit
v_cndmask_b32 v13, v13, v[vgprValuC+33], s[54:55]  // 
v_cvt_pk_fp8_f32  v32, v12, v13 op_sel:[0,0,0]     // convert two f32 accumulated values to fp8 and save it to lo_16[0:15]
v_cmp_class_f32 s[54:55], v[vgprValuC+34], v16     // check NaN and +/-INF
v_med3_f32 v12, v[vgprValuC+34], v14, v15          // Clipping f32 value if exceeds the limit
v_cndmask_b32 v12, v12, v[vgprValuC+34], s[54:55]  // 
v_cmp_class_f32 s[54:55], v[vgprValuC+35], v16     // check NaN and +/-INF
v_med3_f32 v13, v[vgprValuC+35], v14, v15          // Clipping f32 value if exceeds the limit
v_cndmask_b32 v13, v13, v[vgprValuC+35], s[54:55]  // 
v_cvt_pk_fp8_f32  v32, v12, v13 op_sel:[0,0,1]     // convert two f32 accumulated values to fp8 and save it to hi_16[16:31]
_ds_store_b32 v7, v32, offset:24                   // storeRemap lw
v_cmp_class_f32 s[54:55], v[vgprValuC+36], v16     // check NaN and +/-INF
v_med3_f32 v12, v[vgprValuC+36], v14, v15          // Clipping f32 value if exceeds the limit
v_cndmask_b32 v12, v12, v[vgprValuC+36], s[54:55]  // 
v_cmp_class_f32 s[54:55], v[vgprValuC+37], v16     // check NaN and +/-INF
v_med3_f32 v13, v[vgprValuC+37], v14, v15          // Clipping f32 value if exceeds the limit
v_cndmask_b32 v13, v13, v[vgprValuC+37], s[54:55]  // 
v_cvt_pk_fp8_f32  v36, v12, v13 op_sel:[0,0,0]     // convert two f32 accumulated values to fp8 and save it to lo_16[0:15]
v_cmp_class_f32 s[54:55], v[vgprValuC+38], v16     // check NaN and +/-INF
v_med3_f32 v12, v[vgprValuC+38], v14, v15          // Clipping f32 value if exceeds the limit
v_cndmask_b32 v12, v12, v[vgprValuC+38], s[54:55]  // 
v_cmp_class_f32 s[54:55], v[vgprValuC+39], v16     // check NaN and +/-INF
v_med3_f32 v13, v[vgprValuC+39], v14, v15          // Clipping f32 value if exceeds the limit
v_cndmask_b32 v13, v13, v[vgprValuC+39], s[54:55]  // 
v_cvt_pk_fp8_f32  v36, v12, v13 op_sel:[0,0,1]     // convert two f32 accumulated values to fp8 and save it to hi_16[16:31]
_ds_store_b32 v7, v36, offset:128                  // storeRemap lw
v_cmp_class_f32 s[54:55], v[vgprValuC+40], v16     // check NaN and +/-INF
v_med3_f32 v12, v[vgprValuC+40], v14, v15          // Clipping f32 value if exceeds the limit
v_cndmask_b32 v12, v12, v[vgprValuC+40], s[54:55]  // 
v_cmp_class_f32 s[54:55], v[vgprValuC+41], v16     // check NaN and +/-INF
v_med3_f32 v13, v[vgprValuC+41], v14, v15          // Clipping f32 value if exceeds the limit
v_cndmask_b32 v13, v13, v[vgprValuC+41], s[54:55]  // 
v_cvt_pk_fp8_f32  v40, v12, v13 op_sel:[0,0,0]     // convert two f32 accumulated values to fp8 and save it to lo_16[0:15]
v_cmp_class_f32 s[54:55], v[vgprValuC+42], v16     // check NaN and +/-INF
v_med3_f32 v12, v[vgprValuC+42], v14, v15          // Clipping f32 value if exceeds the limit
v_cndmask_b32 v12, v12, v[vgprValuC+42], s[54:55]  // 
v_cmp_class_f32 s[54:55], v[vgprValuC+43], v16     // check NaN and +/-INF
v_med3_f32 v13, v[vgprValuC+43], v14, v15          // Clipping f32 value if exceeds the limit
v_cndmask_b32 v13, v13, v[vgprValuC+43], s[54:55]  // 
v_cvt_pk_fp8_f32  v40, v12, v13 op_sel:[0,0,1]     // convert two f32 accumulated values to fp8 and save it to hi_16[16:31]
_ds_store_b32 v7, v40, offset:136                  // storeRemap lw
v_cmp_class_f32 s[54:55], v[vgprValuC+44], v16     // check NaN and +/-INF
v_med3_f32 v12, v[vgprValuC+44], v14, v15          // Clipping f32 value if exceeds the limit
v_cndmask_b32 v12, v12, v[vgprValuC+44], s[54:55]  // 
v_cmp_class_f32 s[54:55], v[vgprValuC+45], v16     // check NaN and +/-INF
v_med3_f32 v13, v[vgprValuC+45], v14, v15          // Clipping f32 value if exceeds the limit
v_cndmask_b32 v13, v13, v[vgprValuC+45], s[54:55]  // 
v_cvt_pk_fp8_f32  v44, v12, v13 op_sel:[0,0,0]     // convert two f32 accumulated values to fp8 and save it to lo_16[0:15]
v_cmp_class_f32 s[54:55], v[vgprValuC+46], v16     // check NaN and +/-INF
v_med3_f32 v12, v[vgprValuC+46], v14, v15          // Clipping f32 value if exceeds the limit
v_cndmask_b32 v12, v12, v[vgprValuC+46], s[54:55]  // 
v_cmp_class_f32 s[54:55], v[vgprValuC+47], v16     // check NaN and +/-INF
v_med3_f32 v13, v[vgprValuC+47], v14, v15          // Clipping f32 value if exceeds the limit
v_cndmask_b32 v13, v13, v[vgprValuC+47], s[54:55]  // 
v_cvt_pk_fp8_f32  v44, v12, v13 op_sel:[0,0,1]     // convert two f32 accumulated values to fp8 and save it to hi_16[16:31]
_ds_store_b32 v7, v44, offset:144                  // storeRemap lw
v_cmp_class_f32 s[54:55], v[vgprValuC+48], v16     // check NaN and +/-INF
v_med3_f32 v12, v[vgprValuC+48], v14, v15          // Clipping f32 value if exceeds the limit
v_cndmask_b32 v12, v12, v[vgprValuC+48], s[54:55]  // 
v_cmp_class_f32 s[54:55], v[vgprValuC+49], v16     // check NaN and +/-INF
v_med3_f32 v13, v[vgprValuC+49], v14, v15          // Clipping f32 value if exceeds the limit
v_cndmask_b32 v13, v13, v[vgprValuC+49], s[54:55]  // 
v_cvt_pk_fp8_f32  v48, v12, v13 op_sel:[0,0,0]     // convert two f32 accumulated values to fp8 and save it to lo_16[0:15]
v_cmp_class_f32 s[54:55], v[vgprValuC+50], v16     // check NaN and +/-INF
v_med3_f32 v12, v[vgprValuC+50], v14, v15          // Clipping f32 value if exceeds the limit
v_cndmask_b32 v12, v12, v[vgprValuC+50], s[54:55]  // 
v_cmp_class_f32 s[54:55], v[vgprValuC+51], v16     // check NaN and +/-INF
v_med3_f32 v13, v[vgprValuC+51], v14, v15          // Clipping f32 value if exceeds the limit
v_cndmask_b32 v13, v13, v[vgprValuC+51], s[54:55]  // 
v_cvt_pk_fp8_f32  v48, v12, v13 op_sel:[0,0,1]     // convert two f32 accumulated values to fp8 and save it to hi_16[16:31]
_ds_store_b32 v7, v48, offset:152                  // storeRemap lw

/* Handle local read and global write */
s_waitcnt lgkmcnt(0)                               // wait for LDS write
s_barrier //wait all lds write finished

_ds_load_b128 v[20:23], v8, offset:0               // storeRemap lr
_ds_load_b128 v[24:27], v8, offset:1088            // storeRemap lr

v_mov_b32 v18, v6                                  // coord1
v_mul_lo_u32 v18, v18, s[sgprStrideD1J]            // coord1 offset =  coord1 * StrideD
_v_add_lshl_u32 v18, v18, v4, 0x0                  // global write D address
s_waitcnt lgkmcnt(1)                               // wait for LDS read
_buffer_store_b128 v[20:23], v18, s[sgprSrdD:sgprSrdD+3], 0, offen, offset:0 // store D
_v_add_u32 v18, v6, 4                              // coord1 += nColPerLoad
v_mul_lo_u32 v18, v18, s[sgprStrideD1J]            // coord1 offset =  coord1 * StrideD
_v_add_lshl_u32 v18, v18, v4, 0x0                  // global write D address
s_waitcnt lgkmcnt(0)                               // wait for LDS read
_buffer_store_b128 v[24:27], v18, s[sgprSrdD:sgprSrdD+3], 0, offen, offset:0 // store D

s_barrier //wait all lds read finished
s_nop 0                                            // 1 wait state required when next inst writes vgprs held by previous dwordx4 store inst
/* optSingleColVgpr=1 optSharedColVgpr=0 optSGPRUsage=BufferLoad_Mask optSrdIncForRow=1 */

/******************************************/
/* Global Write Alpha Batch #1 (d1,d0,vc1,vc0) = */
/*    (1,0,0,0:vw4); (1,1,0,0:vw4); (1,2,0,0:vw4); (1,3,0,0:vw4); (1,4,0,0:vw4); (1,5,0,0:vw4); (1,6,0,0:vw4); (1,7,0,0:vw4) */
/******************************************/

/* calc coords, apply mask, and issue loads (if necessary) */
/* (d1,vc1,d0,vc0)=(1,0,0,0) */
/* (d1,vc1,d0,vc0)=(1,0,1,0) */
	;; [unrolled: 1-line block ×8, first 2 shown]
v_accvgpr_read_b32 v[vgprValuC+20], acc32 // copy acc to vreg[32]
v_accvgpr_read_b32 v[vgprValuC+21], acc33 // copy acc to vreg[33]
v_accvgpr_read_b32 v[vgprValuC+22], acc34 // copy acc to vreg[34]
v_accvgpr_read_b32 v[vgprValuC+23], acc35 // copy acc to vreg[35]
v_accvgpr_read_b32 v[vgprValuC+24], acc36 // copy acc to vreg[36]
v_accvgpr_read_b32 v[vgprValuC+25], acc37 // copy acc to vreg[37]
v_accvgpr_read_b32 v[vgprValuC+26], acc38 // copy acc to vreg[38]
v_accvgpr_read_b32 v[vgprValuC+27], acc39 // copy acc to vreg[39]
v_accvgpr_read_b32 v[vgprValuC+28], acc40 // copy acc to vreg[40]
v_accvgpr_read_b32 v[vgprValuC+29], acc41 // copy acc to vreg[41]
v_accvgpr_read_b32 v[vgprValuC+30], acc42 // copy acc to vreg[42]
v_accvgpr_read_b32 v[vgprValuC+31], acc43 // copy acc to vreg[43]
v_accvgpr_read_b32 v[vgprValuC+32], acc44 // copy acc to vreg[44]
v_accvgpr_read_b32 v[vgprValuC+33], acc45 // copy acc to vreg[45]
v_accvgpr_read_b32 v[vgprValuC+34], acc46 // copy acc to vreg[46]
v_accvgpr_read_b32 v[vgprValuC+35], acc47 // copy acc to vreg[47]
v_accvgpr_read_b32 v[vgprValuC+36], acc48 // copy acc to vreg[48]
v_accvgpr_read_b32 v[vgprValuC+37], acc49 // copy acc to vreg[49]
v_accvgpr_read_b32 v[vgprValuC+38], acc50 // copy acc to vreg[50]
v_accvgpr_read_b32 v[vgprValuC+39], acc51 // copy acc to vreg[51]
v_accvgpr_read_b32 v[vgprValuC+40], acc52 // copy acc to vreg[52]
v_accvgpr_read_b32 v[vgprValuC+41], acc53 // copy acc to vreg[53]
v_accvgpr_read_b32 v[vgprValuC+42], acc54 // copy acc to vreg[54]
v_accvgpr_read_b32 v[vgprValuC+43], acc55 // copy acc to vreg[55]
v_accvgpr_read_b32 v[vgprValuC+44], acc56 // copy acc to vreg[56]
v_accvgpr_read_b32 v[vgprValuC+45], acc57 // copy acc to vreg[57]
v_accvgpr_read_b32 v[vgprValuC+46], acc58 // copy acc to vreg[58]
v_accvgpr_read_b32 v[vgprValuC+47], acc59 // copy acc to vreg[59]
v_accvgpr_read_b32 v[vgprValuC+48], acc60 // copy acc to vreg[60]
v_accvgpr_read_b32 v[vgprValuC+49], acc61 // copy acc to vreg[61]
v_accvgpr_read_b32 v[vgprValuC+50], acc62 // copy acc to vreg[62]
v_accvgpr_read_b32 v[vgprValuC+51], acc63 // copy acc to vreg[63]
s_nop 1                                            // 2 wait states required before reading vgpr

/* rC *= alpha batchElements=[(1, 0, 0, 0), (1, 1, 0, 0), (1, 2, 0, 0), (1, 3, 0, 0), (1, 4, 0, 0), (1, 5, 0, 0), (1, 6, 0, 0), (1, 7, 0, 0)] */
v_mul_f32 v[vgprValuC+20], s[sgprAlpha], v[vgprValuC+20] // *= alpha
v_mul_f32 v[vgprValuC+21], s[sgprAlpha], v[vgprValuC+21] // *= alpha
	;; [unrolled: 1-line block ×32, first 2 shown]

/* apply mask, calc new C and issue writes */
v_mov_b32 v16, 0x207                               // flag for Nan and +/- inf
v_mov_b32 v14, 0x43700000                          // save 240.0f as max for clipping
v_mov_b32 v15, 0xC3700000                          // save -240.0f as min for clipping

/* StoreRemap: shift coord1 address */
s_mul_i32 s54, s[sgprStrideD1J], 32                // scale StrideD *= numRows(32) * bpe
s_add_u32  s[sgprSrdD+0], s[sgprSrdD+0], s54       // incToNextRow: gra SRD += inc(lower)
s_addc_u32  s[sgprSrdD+1], s[sgprSrdD+1], 0        // incToNextRow: gra SRD += inc(upper)
v_mov_b32 v10, 32                                  // set shift rows
_v_add_u32 v5, v5, v10                             // shift storeRemap coord1
v_cmp_class_f32 s[54:55], v[vgprValuC+20], v16     // check NaN and +/-INF
v_med3_f32 v12, v[vgprValuC+20], v14, v15          // Clipping f32 value if exceeds the limit
v_cndmask_b32 v12, v12, v[vgprValuC+20], s[54:55]  // 
v_cmp_class_f32 s[54:55], v[vgprValuC+21], v16     // check NaN and +/-INF
v_med3_f32 v13, v[vgprValuC+21], v14, v15          // Clipping f32 value if exceeds the limit
v_cndmask_b32 v13, v13, v[vgprValuC+21], s[54:55]  // 
v_cvt_pk_fp8_f32  v20, v12, v13 op_sel:[0,0,0]     // convert two f32 accumulated values to fp8 and save it to lo_16[0:15]
v_cmp_class_f32 s[54:55], v[vgprValuC+22], v16     // check NaN and +/-INF
v_med3_f32 v12, v[vgprValuC+22], v14, v15          // Clipping f32 value if exceeds the limit
v_cndmask_b32 v12, v12, v[vgprValuC+22], s[54:55]  // 
v_cmp_class_f32 s[54:55], v[vgprValuC+23], v16     // check NaN and +/-INF
v_med3_f32 v13, v[vgprValuC+23], v14, v15          // Clipping f32 value if exceeds the limit
v_cndmask_b32 v13, v13, v[vgprValuC+23], s[54:55]  // 
v_cvt_pk_fp8_f32  v20, v12, v13 op_sel:[0,0,1]     // convert two f32 accumulated values to fp8 and save it to hi_16[16:31]
_ds_store_b32 v7, v20, offset:0                    // storeRemap lw
v_cmp_class_f32 s[54:55], v[vgprValuC+24], v16     // check NaN and +/-INF
v_med3_f32 v12, v[vgprValuC+24], v14, v15          // Clipping f32 value if exceeds the limit
v_cndmask_b32 v12, v12, v[vgprValuC+24], s[54:55]  // 
v_cmp_class_f32 s[54:55], v[vgprValuC+25], v16     // check NaN and +/-INF
v_med3_f32 v13, v[vgprValuC+25], v14, v15          // Clipping f32 value if exceeds the limit
v_cndmask_b32 v13, v13, v[vgprValuC+25], s[54:55]  // 
v_cvt_pk_fp8_f32  v24, v12, v13 op_sel:[0,0,0]     // convert two f32 accumulated values to fp8 and save it to lo_16[0:15]
v_cmp_class_f32 s[54:55], v[vgprValuC+26], v16     // check NaN and +/-INF
v_med3_f32 v12, v[vgprValuC+26], v14, v15          // Clipping f32 value if exceeds the limit
v_cndmask_b32 v12, v12, v[vgprValuC+26], s[54:55]  // 
v_cmp_class_f32 s[54:55], v[vgprValuC+27], v16     // check NaN and +/-INF
v_med3_f32 v13, v[vgprValuC+27], v14, v15          // Clipping f32 value if exceeds the limit
v_cndmask_b32 v13, v13, v[vgprValuC+27], s[54:55]  // 
v_cvt_pk_fp8_f32  v24, v12, v13 op_sel:[0,0,1]     // convert two f32 accumulated values to fp8 and save it to hi_16[16:31]
_ds_store_b32 v7, v24, offset:8                    // storeRemap lw
v_cmp_class_f32 s[54:55], v[vgprValuC+28], v16     // check NaN and +/-INF
v_med3_f32 v12, v[vgprValuC+28], v14, v15          // Clipping f32 value if exceeds the limit
v_cndmask_b32 v12, v12, v[vgprValuC+28], s[54:55]  // 
v_cmp_class_f32 s[54:55], v[vgprValuC+29], v16     // check NaN and +/-INF
v_med3_f32 v13, v[vgprValuC+29], v14, v15          // Clipping f32 value if exceeds the limit
v_cndmask_b32 v13, v13, v[vgprValuC+29], s[54:55]  // 
v_cvt_pk_fp8_f32  v28, v12, v13 op_sel:[0,0,0]     // convert two f32 accumulated values to fp8 and save it to lo_16[0:15]
v_cmp_class_f32 s[54:55], v[vgprValuC+30], v16     // check NaN and +/-INF
v_med3_f32 v12, v[vgprValuC+30], v14, v15          // Clipping f32 value if exceeds the limit
v_cndmask_b32 v12, v12, v[vgprValuC+30], s[54:55]  // 
v_cmp_class_f32 s[54:55], v[vgprValuC+31], v16     // check NaN and +/-INF
v_med3_f32 v13, v[vgprValuC+31], v14, v15          // Clipping f32 value if exceeds the limit
v_cndmask_b32 v13, v13, v[vgprValuC+31], s[54:55]  // 
v_cvt_pk_fp8_f32  v28, v12, v13 op_sel:[0,0,1]     // convert two f32 accumulated values to fp8 and save it to hi_16[16:31]
_ds_store_b32 v7, v28, offset:16                   // storeRemap lw
v_cmp_class_f32 s[54:55], v[vgprValuC+32], v16     // check NaN and +/-INF
v_med3_f32 v12, v[vgprValuC+32], v14, v15          // Clipping f32 value if exceeds the limit
v_cndmask_b32 v12, v12, v[vgprValuC+32], s[54:55]  // 
v_cmp_class_f32 s[54:55], v[vgprValuC+33], v16     // check NaN and +/-INF
v_med3_f32 v13, v[vgprValuC+33], v14, v15          // Clipping f32 value if exceeds the limit
v_cndmask_b32 v13, v13, v[vgprValuC+33], s[54:55]  // 
v_cvt_pk_fp8_f32  v32, v12, v13 op_sel:[0,0,0]     // convert two f32 accumulated values to fp8 and save it to lo_16[0:15]
v_cmp_class_f32 s[54:55], v[vgprValuC+34], v16     // check NaN and +/-INF
v_med3_f32 v12, v[vgprValuC+34], v14, v15          // Clipping f32 value if exceeds the limit
v_cndmask_b32 v12, v12, v[vgprValuC+34], s[54:55]  // 
v_cmp_class_f32 s[54:55], v[vgprValuC+35], v16     // check NaN and +/-INF
v_med3_f32 v13, v[vgprValuC+35], v14, v15          // Clipping f32 value if exceeds the limit
v_cndmask_b32 v13, v13, v[vgprValuC+35], s[54:55]  // 
v_cvt_pk_fp8_f32  v32, v12, v13 op_sel:[0,0,1]     // convert two f32 accumulated values to fp8 and save it to hi_16[16:31]
_ds_store_b32 v7, v32, offset:24                   // storeRemap lw
v_cmp_class_f32 s[54:55], v[vgprValuC+36], v16     // check NaN and +/-INF
v_med3_f32 v12, v[vgprValuC+36], v14, v15          // Clipping f32 value if exceeds the limit
v_cndmask_b32 v12, v12, v[vgprValuC+36], s[54:55]  // 
v_cmp_class_f32 s[54:55], v[vgprValuC+37], v16     // check NaN and +/-INF
v_med3_f32 v13, v[vgprValuC+37], v14, v15          // Clipping f32 value if exceeds the limit
v_cndmask_b32 v13, v13, v[vgprValuC+37], s[54:55]  // 
v_cvt_pk_fp8_f32  v36, v12, v13 op_sel:[0,0,0]     // convert two f32 accumulated values to fp8 and save it to lo_16[0:15]
v_cmp_class_f32 s[54:55], v[vgprValuC+38], v16     // check NaN and +/-INF
v_med3_f32 v12, v[vgprValuC+38], v14, v15          // Clipping f32 value if exceeds the limit
v_cndmask_b32 v12, v12, v[vgprValuC+38], s[54:55]  // 
v_cmp_class_f32 s[54:55], v[vgprValuC+39], v16     // check NaN and +/-INF
v_med3_f32 v13, v[vgprValuC+39], v14, v15          // Clipping f32 value if exceeds the limit
v_cndmask_b32 v13, v13, v[vgprValuC+39], s[54:55]  // 
v_cvt_pk_fp8_f32  v36, v12, v13 op_sel:[0,0,1]     // convert two f32 accumulated values to fp8 and save it to hi_16[16:31]
_ds_store_b32 v7, v36, offset:128                  // storeRemap lw
v_cmp_class_f32 s[54:55], v[vgprValuC+40], v16     // check NaN and +/-INF
v_med3_f32 v12, v[vgprValuC+40], v14, v15          // Clipping f32 value if exceeds the limit
v_cndmask_b32 v12, v12, v[vgprValuC+40], s[54:55]  // 
v_cmp_class_f32 s[54:55], v[vgprValuC+41], v16     // check NaN and +/-INF
v_med3_f32 v13, v[vgprValuC+41], v14, v15          // Clipping f32 value if exceeds the limit
v_cndmask_b32 v13, v13, v[vgprValuC+41], s[54:55]  // 
v_cvt_pk_fp8_f32  v40, v12, v13 op_sel:[0,0,0]     // convert two f32 accumulated values to fp8 and save it to lo_16[0:15]
v_cmp_class_f32 s[54:55], v[vgprValuC+42], v16     // check NaN and +/-INF
v_med3_f32 v12, v[vgprValuC+42], v14, v15          // Clipping f32 value if exceeds the limit
v_cndmask_b32 v12, v12, v[vgprValuC+42], s[54:55]  // 
v_cmp_class_f32 s[54:55], v[vgprValuC+43], v16     // check NaN and +/-INF
v_med3_f32 v13, v[vgprValuC+43], v14, v15          // Clipping f32 value if exceeds the limit
v_cndmask_b32 v13, v13, v[vgprValuC+43], s[54:55]  // 
v_cvt_pk_fp8_f32  v40, v12, v13 op_sel:[0,0,1]     // convert two f32 accumulated values to fp8 and save it to hi_16[16:31]
_ds_store_b32 v7, v40, offset:136                  // storeRemap lw
v_cmp_class_f32 s[54:55], v[vgprValuC+44], v16     // check NaN and +/-INF
v_med3_f32 v12, v[vgprValuC+44], v14, v15          // Clipping f32 value if exceeds the limit
v_cndmask_b32 v12, v12, v[vgprValuC+44], s[54:55]  // 
v_cmp_class_f32 s[54:55], v[vgprValuC+45], v16     // check NaN and +/-INF
v_med3_f32 v13, v[vgprValuC+45], v14, v15          // Clipping f32 value if exceeds the limit
v_cndmask_b32 v13, v13, v[vgprValuC+45], s[54:55]  // 
v_cvt_pk_fp8_f32  v44, v12, v13 op_sel:[0,0,0]     // convert two f32 accumulated values to fp8 and save it to lo_16[0:15]
v_cmp_class_f32 s[54:55], v[vgprValuC+46], v16     // check NaN and +/-INF
v_med3_f32 v12, v[vgprValuC+46], v14, v15          // Clipping f32 value if exceeds the limit
v_cndmask_b32 v12, v12, v[vgprValuC+46], s[54:55]  // 
v_cmp_class_f32 s[54:55], v[vgprValuC+47], v16     // check NaN and +/-INF
v_med3_f32 v13, v[vgprValuC+47], v14, v15          // Clipping f32 value if exceeds the limit
v_cndmask_b32 v13, v13, v[vgprValuC+47], s[54:55]  // 
v_cvt_pk_fp8_f32  v44, v12, v13 op_sel:[0,0,1]     // convert two f32 accumulated values to fp8 and save it to hi_16[16:31]
_ds_store_b32 v7, v44, offset:144                  // storeRemap lw
v_cmp_class_f32 s[54:55], v[vgprValuC+48], v16     // check NaN and +/-INF
v_med3_f32 v12, v[vgprValuC+48], v14, v15          // Clipping f32 value if exceeds the limit
v_cndmask_b32 v12, v12, v[vgprValuC+48], s[54:55]  // 
v_cmp_class_f32 s[54:55], v[vgprValuC+49], v16     // check NaN and +/-INF
v_med3_f32 v13, v[vgprValuC+49], v14, v15          // Clipping f32 value if exceeds the limit
v_cndmask_b32 v13, v13, v[vgprValuC+49], s[54:55]  // 
v_cvt_pk_fp8_f32  v48, v12, v13 op_sel:[0,0,0]     // convert two f32 accumulated values to fp8 and save it to lo_16[0:15]
v_cmp_class_f32 s[54:55], v[vgprValuC+50], v16     // check NaN and +/-INF
v_med3_f32 v12, v[vgprValuC+50], v14, v15          // Clipping f32 value if exceeds the limit
v_cndmask_b32 v12, v12, v[vgprValuC+50], s[54:55]  // 
v_cmp_class_f32 s[54:55], v[vgprValuC+51], v16     // check NaN and +/-INF
v_med3_f32 v13, v[vgprValuC+51], v14, v15          // Clipping f32 value if exceeds the limit
v_cndmask_b32 v13, v13, v[vgprValuC+51], s[54:55]  // 
v_cvt_pk_fp8_f32  v48, v12, v13 op_sel:[0,0,1]     // convert two f32 accumulated values to fp8 and save it to hi_16[16:31]
_ds_store_b32 v7, v48, offset:152                  // storeRemap lw

/* Handle local read and global write */
s_waitcnt lgkmcnt(0)                               // wait for LDS write
s_barrier //wait all lds write finished

_ds_load_b128 v[20:23], v8, offset:0               // storeRemap lr
_ds_load_b128 v[24:27], v8, offset:1088            // storeRemap lr

v_mov_b32 v18, v6                                  // coord1
v_mul_lo_u32 v18, v18, s[sgprStrideD1J]            // coord1 offset =  coord1 * StrideD
_v_add_lshl_u32 v18, v18, v4, 0x0                  // global write D address
s_waitcnt lgkmcnt(1)                               // wait for LDS read
_buffer_store_b128 v[20:23], v18, s[sgprSrdD:sgprSrdD+3], 0, offen, offset:0 // store D
_v_add_u32 v18, v6, 4                              // coord1 += nColPerLoad
v_mul_lo_u32 v18, v18, s[sgprStrideD1J]            // coord1 offset =  coord1 * StrideD
_v_add_lshl_u32 v18, v18, v4, 0x0                  // global write D address
s_waitcnt lgkmcnt(0)                               // wait for LDS read
_buffer_store_b128 v[24:27], v18, s[sgprSrdD:sgprSrdD+3], 0, offen, offset:0 // store D

s_barrier //wait all lds read finished
s_nop 0                                            // 1 wait state required when next inst writes vgprs held by previous dwordx4 store inst
/* optSingleColVgpr=1 optSharedColVgpr=0 optSGPRUsage=BufferLoad_Mask optSrdIncForRow=1 */

/******************************************/
/* Global Write Alpha Batch #2 (d1,d0,vc1,vc0) = */
/*    (2,0,0,0:vw4); (2,1,0,0:vw4); (2,2,0,0:vw4); (2,3,0,0:vw4); (2,4,0,0:vw4); (2,5,0,0:vw4); (2,6,0,0:vw4); (2,7,0,0:vw4) */
/******************************************/

/* calc coords, apply mask, and issue loads (if necessary) */
/* (d1,vc1,d0,vc0)=(2,0,0,0) */
/* (d1,vc1,d0,vc0)=(2,0,1,0) */
	;; [unrolled: 1-line block ×8, first 2 shown]
v_accvgpr_read_b32 v[vgprValuC+20], acc64 // copy acc to vreg[64]
v_accvgpr_read_b32 v[vgprValuC+21], acc65 // copy acc to vreg[65]
v_accvgpr_read_b32 v[vgprValuC+22], acc66 // copy acc to vreg[66]
v_accvgpr_read_b32 v[vgprValuC+23], acc67 // copy acc to vreg[67]
v_accvgpr_read_b32 v[vgprValuC+24], acc68 // copy acc to vreg[68]
v_accvgpr_read_b32 v[vgprValuC+25], acc69 // copy acc to vreg[69]
v_accvgpr_read_b32 v[vgprValuC+26], acc70 // copy acc to vreg[70]
v_accvgpr_read_b32 v[vgprValuC+27], acc71 // copy acc to vreg[71]
v_accvgpr_read_b32 v[vgprValuC+28], acc72 // copy acc to vreg[72]
v_accvgpr_read_b32 v[vgprValuC+29], acc73 // copy acc to vreg[73]
v_accvgpr_read_b32 v[vgprValuC+30], acc74 // copy acc to vreg[74]
v_accvgpr_read_b32 v[vgprValuC+31], acc75 // copy acc to vreg[75]
v_accvgpr_read_b32 v[vgprValuC+32], acc76 // copy acc to vreg[76]
v_accvgpr_read_b32 v[vgprValuC+33], acc77 // copy acc to vreg[77]
v_accvgpr_read_b32 v[vgprValuC+34], acc78 // copy acc to vreg[78]
v_accvgpr_read_b32 v[vgprValuC+35], acc79 // copy acc to vreg[79]
v_accvgpr_read_b32 v[vgprValuC+36], acc80 // copy acc to vreg[80]
v_accvgpr_read_b32 v[vgprValuC+37], acc81 // copy acc to vreg[81]
v_accvgpr_read_b32 v[vgprValuC+38], acc82 // copy acc to vreg[82]
v_accvgpr_read_b32 v[vgprValuC+39], acc83 // copy acc to vreg[83]
v_accvgpr_read_b32 v[vgprValuC+40], acc84 // copy acc to vreg[84]
v_accvgpr_read_b32 v[vgprValuC+41], acc85 // copy acc to vreg[85]
v_accvgpr_read_b32 v[vgprValuC+42], acc86 // copy acc to vreg[86]
v_accvgpr_read_b32 v[vgprValuC+43], acc87 // copy acc to vreg[87]
v_accvgpr_read_b32 v[vgprValuC+44], acc88 // copy acc to vreg[88]
v_accvgpr_read_b32 v[vgprValuC+45], acc89 // copy acc to vreg[89]
v_accvgpr_read_b32 v[vgprValuC+46], acc90 // copy acc to vreg[90]
v_accvgpr_read_b32 v[vgprValuC+47], acc91 // copy acc to vreg[91]
v_accvgpr_read_b32 v[vgprValuC+48], acc92 // copy acc to vreg[92]
v_accvgpr_read_b32 v[vgprValuC+49], acc93 // copy acc to vreg[93]
v_accvgpr_read_b32 v[vgprValuC+50], acc94 // copy acc to vreg[94]
v_accvgpr_read_b32 v[vgprValuC+51], acc95 // copy acc to vreg[95]
s_nop 1                                            // 2 wait states required before reading vgpr

/* rC *= alpha batchElements=[(2, 0, 0, 0), (2, 1, 0, 0), (2, 2, 0, 0), (2, 3, 0, 0), (2, 4, 0, 0), (2, 5, 0, 0), (2, 6, 0, 0), (2, 7, 0, 0)] */
v_mul_f32 v[vgprValuC+20], s[sgprAlpha], v[vgprValuC+20] // *= alpha
v_mul_f32 v[vgprValuC+21], s[sgprAlpha], v[vgprValuC+21] // *= alpha
	;; [unrolled: 1-line block ×32, first 2 shown]

/* apply mask, calc new C and issue writes */
v_mov_b32 v16, 0x207                               // flag for Nan and +/- inf
v_mov_b32 v14, 0x43700000                          // save 240.0f as max for clipping
v_mov_b32 v15, 0xC3700000                          // save -240.0f as min for clipping

/* StoreRemap: shift coord1 address */
s_mul_i32 s54, s[sgprStrideD1J], 32                // scale StrideD *= numRows(32) * bpe
s_add_u32  s[sgprSrdD+0], s[sgprSrdD+0], s54       // incToNextRow: gra SRD += inc(lower)
s_addc_u32  s[sgprSrdD+1], s[sgprSrdD+1], 0        // incToNextRow: gra SRD += inc(upper)
v_mov_b32 v10, 32                                  // set shift rows
_v_add_u32 v5, v5, v10                             // shift storeRemap coord1
v_cmp_class_f32 s[54:55], v[vgprValuC+20], v16     // check NaN and +/-INF
v_med3_f32 v12, v[vgprValuC+20], v14, v15          // Clipping f32 value if exceeds the limit
v_cndmask_b32 v12, v12, v[vgprValuC+20], s[54:55]  // 
v_cmp_class_f32 s[54:55], v[vgprValuC+21], v16     // check NaN and +/-INF
v_med3_f32 v13, v[vgprValuC+21], v14, v15          // Clipping f32 value if exceeds the limit
v_cndmask_b32 v13, v13, v[vgprValuC+21], s[54:55]  // 
v_cvt_pk_fp8_f32  v20, v12, v13 op_sel:[0,0,0]     // convert two f32 accumulated values to fp8 and save it to lo_16[0:15]
v_cmp_class_f32 s[54:55], v[vgprValuC+22], v16     // check NaN and +/-INF
v_med3_f32 v12, v[vgprValuC+22], v14, v15          // Clipping f32 value if exceeds the limit
v_cndmask_b32 v12, v12, v[vgprValuC+22], s[54:55]  // 
v_cmp_class_f32 s[54:55], v[vgprValuC+23], v16     // check NaN and +/-INF
v_med3_f32 v13, v[vgprValuC+23], v14, v15          // Clipping f32 value if exceeds the limit
v_cndmask_b32 v13, v13, v[vgprValuC+23], s[54:55]  // 
v_cvt_pk_fp8_f32  v20, v12, v13 op_sel:[0,0,1]     // convert two f32 accumulated values to fp8 and save it to hi_16[16:31]
_ds_store_b32 v7, v20, offset:0                    // storeRemap lw
v_cmp_class_f32 s[54:55], v[vgprValuC+24], v16     // check NaN and +/-INF
v_med3_f32 v12, v[vgprValuC+24], v14, v15          // Clipping f32 value if exceeds the limit
v_cndmask_b32 v12, v12, v[vgprValuC+24], s[54:55]  // 
v_cmp_class_f32 s[54:55], v[vgprValuC+25], v16     // check NaN and +/-INF
v_med3_f32 v13, v[vgprValuC+25], v14, v15          // Clipping f32 value if exceeds the limit
v_cndmask_b32 v13, v13, v[vgprValuC+25], s[54:55]  // 
v_cvt_pk_fp8_f32  v24, v12, v13 op_sel:[0,0,0]     // convert two f32 accumulated values to fp8 and save it to lo_16[0:15]
v_cmp_class_f32 s[54:55], v[vgprValuC+26], v16     // check NaN and +/-INF
v_med3_f32 v12, v[vgprValuC+26], v14, v15          // Clipping f32 value if exceeds the limit
v_cndmask_b32 v12, v12, v[vgprValuC+26], s[54:55]  // 
v_cmp_class_f32 s[54:55], v[vgprValuC+27], v16     // check NaN and +/-INF
v_med3_f32 v13, v[vgprValuC+27], v14, v15          // Clipping f32 value if exceeds the limit
v_cndmask_b32 v13, v13, v[vgprValuC+27], s[54:55]  // 
v_cvt_pk_fp8_f32  v24, v12, v13 op_sel:[0,0,1]     // convert two f32 accumulated values to fp8 and save it to hi_16[16:31]
_ds_store_b32 v7, v24, offset:8                    // storeRemap lw
v_cmp_class_f32 s[54:55], v[vgprValuC+28], v16     // check NaN and +/-INF
v_med3_f32 v12, v[vgprValuC+28], v14, v15          // Clipping f32 value if exceeds the limit
v_cndmask_b32 v12, v12, v[vgprValuC+28], s[54:55]  // 
v_cmp_class_f32 s[54:55], v[vgprValuC+29], v16     // check NaN and +/-INF
v_med3_f32 v13, v[vgprValuC+29], v14, v15          // Clipping f32 value if exceeds the limit
v_cndmask_b32 v13, v13, v[vgprValuC+29], s[54:55]  // 
v_cvt_pk_fp8_f32  v28, v12, v13 op_sel:[0,0,0]     // convert two f32 accumulated values to fp8 and save it to lo_16[0:15]
v_cmp_class_f32 s[54:55], v[vgprValuC+30], v16     // check NaN and +/-INF
v_med3_f32 v12, v[vgprValuC+30], v14, v15          // Clipping f32 value if exceeds the limit
v_cndmask_b32 v12, v12, v[vgprValuC+30], s[54:55]  // 
v_cmp_class_f32 s[54:55], v[vgprValuC+31], v16     // check NaN and +/-INF
v_med3_f32 v13, v[vgprValuC+31], v14, v15          // Clipping f32 value if exceeds the limit
v_cndmask_b32 v13, v13, v[vgprValuC+31], s[54:55]  // 
v_cvt_pk_fp8_f32  v28, v12, v13 op_sel:[0,0,1]     // convert two f32 accumulated values to fp8 and save it to hi_16[16:31]
_ds_store_b32 v7, v28, offset:16                   // storeRemap lw
v_cmp_class_f32 s[54:55], v[vgprValuC+32], v16     // check NaN and +/-INF
v_med3_f32 v12, v[vgprValuC+32], v14, v15          // Clipping f32 value if exceeds the limit
v_cndmask_b32 v12, v12, v[vgprValuC+32], s[54:55]  // 
v_cmp_class_f32 s[54:55], v[vgprValuC+33], v16     // check NaN and +/-INF
v_med3_f32 v13, v[vgprValuC+33], v14, v15          // Clipping f32 value if exceeds the limit
v_cndmask_b32 v13, v13, v[vgprValuC+33], s[54:55]  // 
v_cvt_pk_fp8_f32  v32, v12, v13 op_sel:[0,0,0]     // convert two f32 accumulated values to fp8 and save it to lo_16[0:15]
v_cmp_class_f32 s[54:55], v[vgprValuC+34], v16     // check NaN and +/-INF
v_med3_f32 v12, v[vgprValuC+34], v14, v15          // Clipping f32 value if exceeds the limit
v_cndmask_b32 v12, v12, v[vgprValuC+34], s[54:55]  // 
v_cmp_class_f32 s[54:55], v[vgprValuC+35], v16     // check NaN and +/-INF
v_med3_f32 v13, v[vgprValuC+35], v14, v15          // Clipping f32 value if exceeds the limit
v_cndmask_b32 v13, v13, v[vgprValuC+35], s[54:55]  // 
v_cvt_pk_fp8_f32  v32, v12, v13 op_sel:[0,0,1]     // convert two f32 accumulated values to fp8 and save it to hi_16[16:31]
_ds_store_b32 v7, v32, offset:24                   // storeRemap lw
v_cmp_class_f32 s[54:55], v[vgprValuC+36], v16     // check NaN and +/-INF
v_med3_f32 v12, v[vgprValuC+36], v14, v15          // Clipping f32 value if exceeds the limit
v_cndmask_b32 v12, v12, v[vgprValuC+36], s[54:55]  // 
v_cmp_class_f32 s[54:55], v[vgprValuC+37], v16     // check NaN and +/-INF
v_med3_f32 v13, v[vgprValuC+37], v14, v15          // Clipping f32 value if exceeds the limit
v_cndmask_b32 v13, v13, v[vgprValuC+37], s[54:55]  // 
v_cvt_pk_fp8_f32  v36, v12, v13 op_sel:[0,0,0]     // convert two f32 accumulated values to fp8 and save it to lo_16[0:15]
v_cmp_class_f32 s[54:55], v[vgprValuC+38], v16     // check NaN and +/-INF
v_med3_f32 v12, v[vgprValuC+38], v14, v15          // Clipping f32 value if exceeds the limit
v_cndmask_b32 v12, v12, v[vgprValuC+38], s[54:55]  // 
v_cmp_class_f32 s[54:55], v[vgprValuC+39], v16     // check NaN and +/-INF
v_med3_f32 v13, v[vgprValuC+39], v14, v15          // Clipping f32 value if exceeds the limit
v_cndmask_b32 v13, v13, v[vgprValuC+39], s[54:55]  // 
v_cvt_pk_fp8_f32  v36, v12, v13 op_sel:[0,0,1]     // convert two f32 accumulated values to fp8 and save it to hi_16[16:31]
_ds_store_b32 v7, v36, offset:128                  // storeRemap lw
v_cmp_class_f32 s[54:55], v[vgprValuC+40], v16     // check NaN and +/-INF
v_med3_f32 v12, v[vgprValuC+40], v14, v15          // Clipping f32 value if exceeds the limit
v_cndmask_b32 v12, v12, v[vgprValuC+40], s[54:55]  // 
v_cmp_class_f32 s[54:55], v[vgprValuC+41], v16     // check NaN and +/-INF
v_med3_f32 v13, v[vgprValuC+41], v14, v15          // Clipping f32 value if exceeds the limit
v_cndmask_b32 v13, v13, v[vgprValuC+41], s[54:55]  // 
v_cvt_pk_fp8_f32  v40, v12, v13 op_sel:[0,0,0]     // convert two f32 accumulated values to fp8 and save it to lo_16[0:15]
v_cmp_class_f32 s[54:55], v[vgprValuC+42], v16     // check NaN and +/-INF
v_med3_f32 v12, v[vgprValuC+42], v14, v15          // Clipping f32 value if exceeds the limit
v_cndmask_b32 v12, v12, v[vgprValuC+42], s[54:55]  // 
v_cmp_class_f32 s[54:55], v[vgprValuC+43], v16     // check NaN and +/-INF
v_med3_f32 v13, v[vgprValuC+43], v14, v15          // Clipping f32 value if exceeds the limit
v_cndmask_b32 v13, v13, v[vgprValuC+43], s[54:55]  // 
v_cvt_pk_fp8_f32  v40, v12, v13 op_sel:[0,0,1]     // convert two f32 accumulated values to fp8 and save it to hi_16[16:31]
_ds_store_b32 v7, v40, offset:136                  // storeRemap lw
	;; [unrolled: 15-line block ×4, first 2 shown]

/* Handle local read and global write */
s_waitcnt lgkmcnt(0)                               // wait for LDS write
s_barrier //wait all lds write finished

_ds_load_b128 v[20:23], v8, offset:0               // storeRemap lr
_ds_load_b128 v[24:27], v8, offset:1088            // storeRemap lr

v_mov_b32 v18, v6                                  // coord1
v_mul_lo_u32 v18, v18, s[sgprStrideD1J]            // coord1 offset =  coord1 * StrideD
_v_add_lshl_u32 v18, v18, v4, 0x0                  // global write D address
s_waitcnt lgkmcnt(1)                               // wait for LDS read
_buffer_store_b128 v[20:23], v18, s[sgprSrdD:sgprSrdD+3], 0, offen, offset:0 // store D
_v_add_u32 v18, v6, 4                              // coord1 += nColPerLoad
v_mul_lo_u32 v18, v18, s[sgprStrideD1J]            // coord1 offset =  coord1 * StrideD
_v_add_lshl_u32 v18, v18, v4, 0x0                  // global write D address
s_waitcnt lgkmcnt(0)                               // wait for LDS read
_buffer_store_b128 v[24:27], v18, s[sgprSrdD:sgprSrdD+3], 0, offen, offset:0 // store D

s_barrier //wait all lds read finished
s_nop 0                                            // 1 wait state required when next inst writes vgprs held by previous dwordx4 store inst
/* optSingleColVgpr=1 optSharedColVgpr=0 optSGPRUsage=BufferLoad_Mask optSrdIncForRow=1 */

/******************************************/
/* Global Write Alpha Batch #3 (d1,d0,vc1,vc0) = */
/*    (3,0,0,0:vw4); (3,1,0,0:vw4); (3,2,0,0:vw4); (3,3,0,0:vw4); (3,4,0,0:vw4); (3,5,0,0:vw4); (3,6,0,0:vw4); (3,7,0,0:vw4) */
/******************************************/

/* calc coords, apply mask, and issue loads (if necessary) */
/* (d1,vc1,d0,vc0)=(3,0,0,0) */
/* (d1,vc1,d0,vc0)=(3,0,1,0) */
	;; [unrolled: 1-line block ×8, first 2 shown]
v_accvgpr_read_b32 v[vgprValuC+20], acc96 // copy acc to vreg[96]
v_accvgpr_read_b32 v[vgprValuC+21], acc97 // copy acc to vreg[97]
v_accvgpr_read_b32 v[vgprValuC+22], acc98 // copy acc to vreg[98]
v_accvgpr_read_b32 v[vgprValuC+23], acc99 // copy acc to vreg[99]
v_accvgpr_read_b32 v[vgprValuC+24], acc100 // copy acc to vreg[100]
v_accvgpr_read_b32 v[vgprValuC+25], acc101 // copy acc to vreg[101]
v_accvgpr_read_b32 v[vgprValuC+26], acc102 // copy acc to vreg[102]
v_accvgpr_read_b32 v[vgprValuC+27], acc103 // copy acc to vreg[103]
v_accvgpr_read_b32 v[vgprValuC+28], acc104 // copy acc to vreg[104]
v_accvgpr_read_b32 v[vgprValuC+29], acc105 // copy acc to vreg[105]
v_accvgpr_read_b32 v[vgprValuC+30], acc106 // copy acc to vreg[106]
v_accvgpr_read_b32 v[vgprValuC+31], acc107 // copy acc to vreg[107]
v_accvgpr_read_b32 v[vgprValuC+32], acc108 // copy acc to vreg[108]
v_accvgpr_read_b32 v[vgprValuC+33], acc109 // copy acc to vreg[109]
v_accvgpr_read_b32 v[vgprValuC+34], acc110 // copy acc to vreg[110]
v_accvgpr_read_b32 v[vgprValuC+35], acc111 // copy acc to vreg[111]
v_accvgpr_read_b32 v[vgprValuC+36], acc112 // copy acc to vreg[112]
v_accvgpr_read_b32 v[vgprValuC+37], acc113 // copy acc to vreg[113]
v_accvgpr_read_b32 v[vgprValuC+38], acc114 // copy acc to vreg[114]
v_accvgpr_read_b32 v[vgprValuC+39], acc115 // copy acc to vreg[115]
v_accvgpr_read_b32 v[vgprValuC+40], acc116 // copy acc to vreg[116]
v_accvgpr_read_b32 v[vgprValuC+41], acc117 // copy acc to vreg[117]
v_accvgpr_read_b32 v[vgprValuC+42], acc118 // copy acc to vreg[118]
v_accvgpr_read_b32 v[vgprValuC+43], acc119 // copy acc to vreg[119]
v_accvgpr_read_b32 v[vgprValuC+44], acc120 // copy acc to vreg[120]
v_accvgpr_read_b32 v[vgprValuC+45], acc121 // copy acc to vreg[121]
v_accvgpr_read_b32 v[vgprValuC+46], acc122 // copy acc to vreg[122]
v_accvgpr_read_b32 v[vgprValuC+47], acc123 // copy acc to vreg[123]
v_accvgpr_read_b32 v[vgprValuC+48], acc124 // copy acc to vreg[124]
v_accvgpr_read_b32 v[vgprValuC+49], acc125 // copy acc to vreg[125]
v_accvgpr_read_b32 v[vgprValuC+50], acc126 // copy acc to vreg[126]
v_accvgpr_read_b32 v[vgprValuC+51], acc127 // copy acc to vreg[127]
s_nop 1                                            // 2 wait states required before reading vgpr

/* rC *= alpha batchElements=[(3, 0, 0, 0), (3, 1, 0, 0), (3, 2, 0, 0), (3, 3, 0, 0), (3, 4, 0, 0), (3, 5, 0, 0), (3, 6, 0, 0), (3, 7, 0, 0)] */
v_mul_f32 v[vgprValuC+20], s[sgprAlpha], v[vgprValuC+20] // *= alpha
v_mul_f32 v[vgprValuC+21], s[sgprAlpha], v[vgprValuC+21] // *= alpha
	;; [unrolled: 1-line block ×32, first 2 shown]

/* apply mask, calc new C and issue writes */
v_mov_b32 v16, 0x207                               // flag for Nan and +/- inf
v_mov_b32 v14, 0x43700000                          // save 240.0f as max for clipping
v_mov_b32 v15, 0xC3700000                          // save -240.0f as min for clipping

/* StoreRemap: shift coord1 address */
s_mul_i32 s54, s[sgprStrideD1J], 32                // scale StrideD *= numRows(32) * bpe
s_add_u32  s[sgprSrdD+0], s[sgprSrdD+0], s54       // incToNextRow: gra SRD += inc(lower)
s_addc_u32  s[sgprSrdD+1], s[sgprSrdD+1], 0        // incToNextRow: gra SRD += inc(upper)
v_mov_b32 v10, 32                                  // set shift rows
_v_add_u32 v5, v5, v10                             // shift storeRemap coord1
v_cmp_class_f32 s[54:55], v[vgprValuC+20], v16     // check NaN and +/-INF
v_med3_f32 v12, v[vgprValuC+20], v14, v15          // Clipping f32 value if exceeds the limit
v_cndmask_b32 v12, v12, v[vgprValuC+20], s[54:55]  // 
v_cmp_class_f32 s[54:55], v[vgprValuC+21], v16     // check NaN and +/-INF
v_med3_f32 v13, v[vgprValuC+21], v14, v15          // Clipping f32 value if exceeds the limit
v_cndmask_b32 v13, v13, v[vgprValuC+21], s[54:55]  // 
v_cvt_pk_fp8_f32  v20, v12, v13 op_sel:[0,0,0]     // convert two f32 accumulated values to fp8 and save it to lo_16[0:15]
v_cmp_class_f32 s[54:55], v[vgprValuC+22], v16     // check NaN and +/-INF
v_med3_f32 v12, v[vgprValuC+22], v14, v15          // Clipping f32 value if exceeds the limit
v_cndmask_b32 v12, v12, v[vgprValuC+22], s[54:55]  // 
v_cmp_class_f32 s[54:55], v[vgprValuC+23], v16     // check NaN and +/-INF
v_med3_f32 v13, v[vgprValuC+23], v14, v15          // Clipping f32 value if exceeds the limit
v_cndmask_b32 v13, v13, v[vgprValuC+23], s[54:55]  // 
v_cvt_pk_fp8_f32  v20, v12, v13 op_sel:[0,0,1]     // convert two f32 accumulated values to fp8 and save it to hi_16[16:31]
_ds_store_b32 v7, v20, offset:0                    // storeRemap lw
v_cmp_class_f32 s[54:55], v[vgprValuC+24], v16     // check NaN and +/-INF
v_med3_f32 v12, v[vgprValuC+24], v14, v15          // Clipping f32 value if exceeds the limit
v_cndmask_b32 v12, v12, v[vgprValuC+24], s[54:55]  // 
v_cmp_class_f32 s[54:55], v[vgprValuC+25], v16     // check NaN and +/-INF
v_med3_f32 v13, v[vgprValuC+25], v14, v15          // Clipping f32 value if exceeds the limit
v_cndmask_b32 v13, v13, v[vgprValuC+25], s[54:55]  // 
v_cvt_pk_fp8_f32  v24, v12, v13 op_sel:[0,0,0]     // convert two f32 accumulated values to fp8 and save it to lo_16[0:15]
v_cmp_class_f32 s[54:55], v[vgprValuC+26], v16     // check NaN and +/-INF
v_med3_f32 v12, v[vgprValuC+26], v14, v15          // Clipping f32 value if exceeds the limit
v_cndmask_b32 v12, v12, v[vgprValuC+26], s[54:55]  // 
v_cmp_class_f32 s[54:55], v[vgprValuC+27], v16     // check NaN and +/-INF
v_med3_f32 v13, v[vgprValuC+27], v14, v15          // Clipping f32 value if exceeds the limit
v_cndmask_b32 v13, v13, v[vgprValuC+27], s[54:55]  // 
v_cvt_pk_fp8_f32  v24, v12, v13 op_sel:[0,0,1]     // convert two f32 accumulated values to fp8 and save it to hi_16[16:31]
_ds_store_b32 v7, v24, offset:8                    // storeRemap lw
v_cmp_class_f32 s[54:55], v[vgprValuC+28], v16     // check NaN and +/-INF
v_med3_f32 v12, v[vgprValuC+28], v14, v15          // Clipping f32 value if exceeds the limit
v_cndmask_b32 v12, v12, v[vgprValuC+28], s[54:55]  // 
v_cmp_class_f32 s[54:55], v[vgprValuC+29], v16     // check NaN and +/-INF
v_med3_f32 v13, v[vgprValuC+29], v14, v15          // Clipping f32 value if exceeds the limit
v_cndmask_b32 v13, v13, v[vgprValuC+29], s[54:55]  // 
v_cvt_pk_fp8_f32  v28, v12, v13 op_sel:[0,0,0]     // convert two f32 accumulated values to fp8 and save it to lo_16[0:15]
v_cmp_class_f32 s[54:55], v[vgprValuC+30], v16     // check NaN and +/-INF
v_med3_f32 v12, v[vgprValuC+30], v14, v15          // Clipping f32 value if exceeds the limit
v_cndmask_b32 v12, v12, v[vgprValuC+30], s[54:55]  // 
v_cmp_class_f32 s[54:55], v[vgprValuC+31], v16     // check NaN and +/-INF
v_med3_f32 v13, v[vgprValuC+31], v14, v15          // Clipping f32 value if exceeds the limit
v_cndmask_b32 v13, v13, v[vgprValuC+31], s[54:55]  // 
v_cvt_pk_fp8_f32  v28, v12, v13 op_sel:[0,0,1]     // convert two f32 accumulated values to fp8 and save it to hi_16[16:31]
_ds_store_b32 v7, v28, offset:16                   // storeRemap lw
v_cmp_class_f32 s[54:55], v[vgprValuC+32], v16     // check NaN and +/-INF
v_med3_f32 v12, v[vgprValuC+32], v14, v15          // Clipping f32 value if exceeds the limit
v_cndmask_b32 v12, v12, v[vgprValuC+32], s[54:55]  // 
v_cmp_class_f32 s[54:55], v[vgprValuC+33], v16     // check NaN and +/-INF
v_med3_f32 v13, v[vgprValuC+33], v14, v15          // Clipping f32 value if exceeds the limit
v_cndmask_b32 v13, v13, v[vgprValuC+33], s[54:55]  // 
v_cvt_pk_fp8_f32  v32, v12, v13 op_sel:[0,0,0]     // convert two f32 accumulated values to fp8 and save it to lo_16[0:15]
v_cmp_class_f32 s[54:55], v[vgprValuC+34], v16     // check NaN and +/-INF
v_med3_f32 v12, v[vgprValuC+34], v14, v15          // Clipping f32 value if exceeds the limit
v_cndmask_b32 v12, v12, v[vgprValuC+34], s[54:55]  // 
v_cmp_class_f32 s[54:55], v[vgprValuC+35], v16     // check NaN and +/-INF
v_med3_f32 v13, v[vgprValuC+35], v14, v15          // Clipping f32 value if exceeds the limit
v_cndmask_b32 v13, v13, v[vgprValuC+35], s[54:55]  // 
v_cvt_pk_fp8_f32  v32, v12, v13 op_sel:[0,0,1]     // convert two f32 accumulated values to fp8 and save it to hi_16[16:31]
_ds_store_b32 v7, v32, offset:24                   // storeRemap lw
v_cmp_class_f32 s[54:55], v[vgprValuC+36], v16     // check NaN and +/-INF
v_med3_f32 v12, v[vgprValuC+36], v14, v15          // Clipping f32 value if exceeds the limit
v_cndmask_b32 v12, v12, v[vgprValuC+36], s[54:55]  // 
v_cmp_class_f32 s[54:55], v[vgprValuC+37], v16     // check NaN and +/-INF
v_med3_f32 v13, v[vgprValuC+37], v14, v15          // Clipping f32 value if exceeds the limit
v_cndmask_b32 v13, v13, v[vgprValuC+37], s[54:55]  // 
v_cvt_pk_fp8_f32  v36, v12, v13 op_sel:[0,0,0]     // convert two f32 accumulated values to fp8 and save it to lo_16[0:15]
v_cmp_class_f32 s[54:55], v[vgprValuC+38], v16     // check NaN and +/-INF
v_med3_f32 v12, v[vgprValuC+38], v14, v15          // Clipping f32 value if exceeds the limit
v_cndmask_b32 v12, v12, v[vgprValuC+38], s[54:55]  // 
v_cmp_class_f32 s[54:55], v[vgprValuC+39], v16     // check NaN and +/-INF
v_med3_f32 v13, v[vgprValuC+39], v14, v15          // Clipping f32 value if exceeds the limit
v_cndmask_b32 v13, v13, v[vgprValuC+39], s[54:55]  // 
v_cvt_pk_fp8_f32  v36, v12, v13 op_sel:[0,0,1]     // convert two f32 accumulated values to fp8 and save it to hi_16[16:31]
_ds_store_b32 v7, v36, offset:128                  // storeRemap lw
v_cmp_class_f32 s[54:55], v[vgprValuC+40], v16     // check NaN and +/-INF
v_med3_f32 v12, v[vgprValuC+40], v14, v15          // Clipping f32 value if exceeds the limit
v_cndmask_b32 v12, v12, v[vgprValuC+40], s[54:55]  // 
v_cmp_class_f32 s[54:55], v[vgprValuC+41], v16     // check NaN and +/-INF
v_med3_f32 v13, v[vgprValuC+41], v14, v15          // Clipping f32 value if exceeds the limit
v_cndmask_b32 v13, v13, v[vgprValuC+41], s[54:55]  // 
v_cvt_pk_fp8_f32  v40, v12, v13 op_sel:[0,0,0]     // convert two f32 accumulated values to fp8 and save it to lo_16[0:15]
v_cmp_class_f32 s[54:55], v[vgprValuC+42], v16     // check NaN and +/-INF
v_med3_f32 v12, v[vgprValuC+42], v14, v15          // Clipping f32 value if exceeds the limit
v_cndmask_b32 v12, v12, v[vgprValuC+42], s[54:55]  // 
v_cmp_class_f32 s[54:55], v[vgprValuC+43], v16     // check NaN and +/-INF
v_med3_f32 v13, v[vgprValuC+43], v14, v15          // Clipping f32 value if exceeds the limit
v_cndmask_b32 v13, v13, v[vgprValuC+43], s[54:55]  // 
v_cvt_pk_fp8_f32  v40, v12, v13 op_sel:[0,0,1]     // convert two f32 accumulated values to fp8 and save it to hi_16[16:31]
_ds_store_b32 v7, v40, offset:136                  // storeRemap lw
	;; [unrolled: 15-line block ×4, first 2 shown]

/* Handle local read and global write */
s_waitcnt lgkmcnt(0)                               // wait for LDS write
s_barrier //wait all lds write finished

_ds_load_b128 v[20:23], v8, offset:0               // storeRemap lr
_ds_load_b128 v[24:27], v8, offset:1088            // storeRemap lr

v_mov_b32 v18, v6                                  // coord1
v_mul_lo_u32 v18, v18, s[sgprStrideD1J]            // coord1 offset =  coord1 * StrideD
_v_add_lshl_u32 v18, v18, v4, 0x0                  // global write D address
s_waitcnt lgkmcnt(1)                               // wait for LDS read
_buffer_store_b128 v[20:23], v18, s[sgprSrdD:sgprSrdD+3], 0, offen, offset:0 // store D
_v_add_u32 v18, v6, 4                              // coord1 += nColPerLoad
v_mul_lo_u32 v18, v18, s[sgprStrideD1J]            // coord1 offset =  coord1 * StrideD
_v_add_lshl_u32 v18, v18, v4, 0x0                  // global write D address
s_waitcnt lgkmcnt(0)                               // wait for LDS read
_buffer_store_b128 v[24:27], v18, s[sgprSrdD:sgprSrdD+3], 0, offen, offset:0 // store D

s_barrier //wait all lds read finished
s_nop 0                                            // 1 wait state required when next inst writes vgprs held by previous dwordx4 store inst
/* optSingleColVgpr=1 optSharedColVgpr=0 optSGPRUsage=BufferLoad_Mask optSrdIncForRow=1 */

/******************************************/
/* Global Write Alpha Batch #4 (d1,d0,vc1,vc0) = */
/*    (4,0,0,0:vw4); (4,1,0,0:vw4); (4,2,0,0:vw4); (4,3,0,0:vw4); (4,4,0,0:vw4); (4,5,0,0:vw4); (4,6,0,0:vw4); (4,7,0,0:vw4) */
/******************************************/

/* calc coords, apply mask, and issue loads (if necessary) */
/* (d1,vc1,d0,vc0)=(4,0,0,0) */
/* (d1,vc1,d0,vc0)=(4,0,1,0) */
	;; [unrolled: 1-line block ×8, first 2 shown]
v_accvgpr_read_b32 v[vgprValuC+20], acc128 // copy acc to vreg[128]
v_accvgpr_read_b32 v[vgprValuC+21], acc129 // copy acc to vreg[129]
v_accvgpr_read_b32 v[vgprValuC+22], acc130 // copy acc to vreg[130]
v_accvgpr_read_b32 v[vgprValuC+23], acc131 // copy acc to vreg[131]
v_accvgpr_read_b32 v[vgprValuC+24], acc132 // copy acc to vreg[132]
v_accvgpr_read_b32 v[vgprValuC+25], acc133 // copy acc to vreg[133]
v_accvgpr_read_b32 v[vgprValuC+26], acc134 // copy acc to vreg[134]
v_accvgpr_read_b32 v[vgprValuC+27], acc135 // copy acc to vreg[135]
v_accvgpr_read_b32 v[vgprValuC+28], acc136 // copy acc to vreg[136]
v_accvgpr_read_b32 v[vgprValuC+29], acc137 // copy acc to vreg[137]
v_accvgpr_read_b32 v[vgprValuC+30], acc138 // copy acc to vreg[138]
v_accvgpr_read_b32 v[vgprValuC+31], acc139 // copy acc to vreg[139]
v_accvgpr_read_b32 v[vgprValuC+32], acc140 // copy acc to vreg[140]
v_accvgpr_read_b32 v[vgprValuC+33], acc141 // copy acc to vreg[141]
v_accvgpr_read_b32 v[vgprValuC+34], acc142 // copy acc to vreg[142]
v_accvgpr_read_b32 v[vgprValuC+35], acc143 // copy acc to vreg[143]
v_accvgpr_read_b32 v[vgprValuC+36], acc144 // copy acc to vreg[144]
v_accvgpr_read_b32 v[vgprValuC+37], acc145 // copy acc to vreg[145]
v_accvgpr_read_b32 v[vgprValuC+38], acc146 // copy acc to vreg[146]
v_accvgpr_read_b32 v[vgprValuC+39], acc147 // copy acc to vreg[147]
v_accvgpr_read_b32 v[vgprValuC+40], acc148 // copy acc to vreg[148]
v_accvgpr_read_b32 v[vgprValuC+41], acc149 // copy acc to vreg[149]
v_accvgpr_read_b32 v[vgprValuC+42], acc150 // copy acc to vreg[150]
v_accvgpr_read_b32 v[vgprValuC+43], acc151 // copy acc to vreg[151]
v_accvgpr_read_b32 v[vgprValuC+44], acc152 // copy acc to vreg[152]
v_accvgpr_read_b32 v[vgprValuC+45], acc153 // copy acc to vreg[153]
v_accvgpr_read_b32 v[vgprValuC+46], acc154 // copy acc to vreg[154]
v_accvgpr_read_b32 v[vgprValuC+47], acc155 // copy acc to vreg[155]
v_accvgpr_read_b32 v[vgprValuC+48], acc156 // copy acc to vreg[156]
v_accvgpr_read_b32 v[vgprValuC+49], acc157 // copy acc to vreg[157]
v_accvgpr_read_b32 v[vgprValuC+50], acc158 // copy acc to vreg[158]
v_accvgpr_read_b32 v[vgprValuC+51], acc159 // copy acc to vreg[159]
s_nop 1                                            // 2 wait states required before reading vgpr

/* rC *= alpha batchElements=[(4, 0, 0, 0), (4, 1, 0, 0), (4, 2, 0, 0), (4, 3, 0, 0), (4, 4, 0, 0), (4, 5, 0, 0), (4, 6, 0, 0), (4, 7, 0, 0)] */
v_mul_f32 v[vgprValuC+20], s[sgprAlpha], v[vgprValuC+20] // *= alpha
v_mul_f32 v[vgprValuC+21], s[sgprAlpha], v[vgprValuC+21] // *= alpha
	;; [unrolled: 1-line block ×32, first 2 shown]

/* apply mask, calc new C and issue writes */
v_mov_b32 v16, 0x207                               // flag for Nan and +/- inf
v_mov_b32 v14, 0x43700000                          // save 240.0f as max for clipping
v_mov_b32 v15, 0xC3700000                          // save -240.0f as min for clipping

/* StoreRemap: shift coord1 address */
s_mul_i32 s54, s[sgprStrideD1J], 32                // scale StrideD *= numRows(32) * bpe
s_add_u32  s[sgprSrdD+0], s[sgprSrdD+0], s54       // incToNextRow: gra SRD += inc(lower)
s_addc_u32  s[sgprSrdD+1], s[sgprSrdD+1], 0        // incToNextRow: gra SRD += inc(upper)
v_mov_b32 v10, 32                                  // set shift rows
_v_add_u32 v5, v5, v10                             // shift storeRemap coord1
v_cmp_class_f32 s[54:55], v[vgprValuC+20], v16     // check NaN and +/-INF
v_med3_f32 v12, v[vgprValuC+20], v14, v15          // Clipping f32 value if exceeds the limit
v_cndmask_b32 v12, v12, v[vgprValuC+20], s[54:55]  // 
v_cmp_class_f32 s[54:55], v[vgprValuC+21], v16     // check NaN and +/-INF
v_med3_f32 v13, v[vgprValuC+21], v14, v15          // Clipping f32 value if exceeds the limit
v_cndmask_b32 v13, v13, v[vgprValuC+21], s[54:55]  // 
v_cvt_pk_fp8_f32  v20, v12, v13 op_sel:[0,0,0]     // convert two f32 accumulated values to fp8 and save it to lo_16[0:15]
v_cmp_class_f32 s[54:55], v[vgprValuC+22], v16     // check NaN and +/-INF
v_med3_f32 v12, v[vgprValuC+22], v14, v15          // Clipping f32 value if exceeds the limit
v_cndmask_b32 v12, v12, v[vgprValuC+22], s[54:55]  // 
v_cmp_class_f32 s[54:55], v[vgprValuC+23], v16     // check NaN and +/-INF
v_med3_f32 v13, v[vgprValuC+23], v14, v15          // Clipping f32 value if exceeds the limit
v_cndmask_b32 v13, v13, v[vgprValuC+23], s[54:55]  // 
v_cvt_pk_fp8_f32  v20, v12, v13 op_sel:[0,0,1]     // convert two f32 accumulated values to fp8 and save it to hi_16[16:31]
_ds_store_b32 v7, v20, offset:0                    // storeRemap lw
v_cmp_class_f32 s[54:55], v[vgprValuC+24], v16     // check NaN and +/-INF
v_med3_f32 v12, v[vgprValuC+24], v14, v15          // Clipping f32 value if exceeds the limit
v_cndmask_b32 v12, v12, v[vgprValuC+24], s[54:55]  // 
v_cmp_class_f32 s[54:55], v[vgprValuC+25], v16     // check NaN and +/-INF
v_med3_f32 v13, v[vgprValuC+25], v14, v15          // Clipping f32 value if exceeds the limit
v_cndmask_b32 v13, v13, v[vgprValuC+25], s[54:55]  // 
v_cvt_pk_fp8_f32  v24, v12, v13 op_sel:[0,0,0]     // convert two f32 accumulated values to fp8 and save it to lo_16[0:15]
v_cmp_class_f32 s[54:55], v[vgprValuC+26], v16     // check NaN and +/-INF
v_med3_f32 v12, v[vgprValuC+26], v14, v15          // Clipping f32 value if exceeds the limit
v_cndmask_b32 v12, v12, v[vgprValuC+26], s[54:55]  // 
v_cmp_class_f32 s[54:55], v[vgprValuC+27], v16     // check NaN and +/-INF
v_med3_f32 v13, v[vgprValuC+27], v14, v15          // Clipping f32 value if exceeds the limit
v_cndmask_b32 v13, v13, v[vgprValuC+27], s[54:55]  // 
v_cvt_pk_fp8_f32  v24, v12, v13 op_sel:[0,0,1]     // convert two f32 accumulated values to fp8 and save it to hi_16[16:31]
_ds_store_b32 v7, v24, offset:8                    // storeRemap lw
v_cmp_class_f32 s[54:55], v[vgprValuC+28], v16     // check NaN and +/-INF
v_med3_f32 v12, v[vgprValuC+28], v14, v15          // Clipping f32 value if exceeds the limit
v_cndmask_b32 v12, v12, v[vgprValuC+28], s[54:55]  // 
v_cmp_class_f32 s[54:55], v[vgprValuC+29], v16     // check NaN and +/-INF
v_med3_f32 v13, v[vgprValuC+29], v14, v15          // Clipping f32 value if exceeds the limit
v_cndmask_b32 v13, v13, v[vgprValuC+29], s[54:55]  // 
v_cvt_pk_fp8_f32  v28, v12, v13 op_sel:[0,0,0]     // convert two f32 accumulated values to fp8 and save it to lo_16[0:15]
v_cmp_class_f32 s[54:55], v[vgprValuC+30], v16     // check NaN and +/-INF
v_med3_f32 v12, v[vgprValuC+30], v14, v15          // Clipping f32 value if exceeds the limit
v_cndmask_b32 v12, v12, v[vgprValuC+30], s[54:55]  // 
v_cmp_class_f32 s[54:55], v[vgprValuC+31], v16     // check NaN and +/-INF
v_med3_f32 v13, v[vgprValuC+31], v14, v15          // Clipping f32 value if exceeds the limit
v_cndmask_b32 v13, v13, v[vgprValuC+31], s[54:55]  // 
v_cvt_pk_fp8_f32  v28, v12, v13 op_sel:[0,0,1]     // convert two f32 accumulated values to fp8 and save it to hi_16[16:31]
_ds_store_b32 v7, v28, offset:16                   // storeRemap lw
v_cmp_class_f32 s[54:55], v[vgprValuC+32], v16     // check NaN and +/-INF
v_med3_f32 v12, v[vgprValuC+32], v14, v15          // Clipping f32 value if exceeds the limit
v_cndmask_b32 v12, v12, v[vgprValuC+32], s[54:55]  // 
v_cmp_class_f32 s[54:55], v[vgprValuC+33], v16     // check NaN and +/-INF
v_med3_f32 v13, v[vgprValuC+33], v14, v15          // Clipping f32 value if exceeds the limit
v_cndmask_b32 v13, v13, v[vgprValuC+33], s[54:55]  // 
v_cvt_pk_fp8_f32  v32, v12, v13 op_sel:[0,0,0]     // convert two f32 accumulated values to fp8 and save it to lo_16[0:15]
v_cmp_class_f32 s[54:55], v[vgprValuC+34], v16     // check NaN and +/-INF
v_med3_f32 v12, v[vgprValuC+34], v14, v15          // Clipping f32 value if exceeds the limit
v_cndmask_b32 v12, v12, v[vgprValuC+34], s[54:55]  // 
v_cmp_class_f32 s[54:55], v[vgprValuC+35], v16     // check NaN and +/-INF
v_med3_f32 v13, v[vgprValuC+35], v14, v15          // Clipping f32 value if exceeds the limit
v_cndmask_b32 v13, v13, v[vgprValuC+35], s[54:55]  // 
v_cvt_pk_fp8_f32  v32, v12, v13 op_sel:[0,0,1]     // convert two f32 accumulated values to fp8 and save it to hi_16[16:31]
_ds_store_b32 v7, v32, offset:24                   // storeRemap lw
v_cmp_class_f32 s[54:55], v[vgprValuC+36], v16     // check NaN and +/-INF
v_med3_f32 v12, v[vgprValuC+36], v14, v15          // Clipping f32 value if exceeds the limit
v_cndmask_b32 v12, v12, v[vgprValuC+36], s[54:55]  // 
v_cmp_class_f32 s[54:55], v[vgprValuC+37], v16     // check NaN and +/-INF
v_med3_f32 v13, v[vgprValuC+37], v14, v15          // Clipping f32 value if exceeds the limit
v_cndmask_b32 v13, v13, v[vgprValuC+37], s[54:55]  // 
v_cvt_pk_fp8_f32  v36, v12, v13 op_sel:[0,0,0]     // convert two f32 accumulated values to fp8 and save it to lo_16[0:15]
v_cmp_class_f32 s[54:55], v[vgprValuC+38], v16     // check NaN and +/-INF
v_med3_f32 v12, v[vgprValuC+38], v14, v15          // Clipping f32 value if exceeds the limit
v_cndmask_b32 v12, v12, v[vgprValuC+38], s[54:55]  // 
v_cmp_class_f32 s[54:55], v[vgprValuC+39], v16     // check NaN and +/-INF
v_med3_f32 v13, v[vgprValuC+39], v14, v15          // Clipping f32 value if exceeds the limit
v_cndmask_b32 v13, v13, v[vgprValuC+39], s[54:55]  // 
v_cvt_pk_fp8_f32  v36, v12, v13 op_sel:[0,0,1]     // convert two f32 accumulated values to fp8 and save it to hi_16[16:31]
_ds_store_b32 v7, v36, offset:128                  // storeRemap lw
v_cmp_class_f32 s[54:55], v[vgprValuC+40], v16     // check NaN and +/-INF
v_med3_f32 v12, v[vgprValuC+40], v14, v15          // Clipping f32 value if exceeds the limit
v_cndmask_b32 v12, v12, v[vgprValuC+40], s[54:55]  // 
v_cmp_class_f32 s[54:55], v[vgprValuC+41], v16     // check NaN and +/-INF
v_med3_f32 v13, v[vgprValuC+41], v14, v15          // Clipping f32 value if exceeds the limit
v_cndmask_b32 v13, v13, v[vgprValuC+41], s[54:55]  // 
v_cvt_pk_fp8_f32  v40, v12, v13 op_sel:[0,0,0]     // convert two f32 accumulated values to fp8 and save it to lo_16[0:15]
v_cmp_class_f32 s[54:55], v[vgprValuC+42], v16     // check NaN and +/-INF
v_med3_f32 v12, v[vgprValuC+42], v14, v15          // Clipping f32 value if exceeds the limit
v_cndmask_b32 v12, v12, v[vgprValuC+42], s[54:55]  // 
v_cmp_class_f32 s[54:55], v[vgprValuC+43], v16     // check NaN and +/-INF
v_med3_f32 v13, v[vgprValuC+43], v14, v15          // Clipping f32 value if exceeds the limit
v_cndmask_b32 v13, v13, v[vgprValuC+43], s[54:55]  // 
v_cvt_pk_fp8_f32  v40, v12, v13 op_sel:[0,0,1]     // convert two f32 accumulated values to fp8 and save it to hi_16[16:31]
_ds_store_b32 v7, v40, offset:136                  // storeRemap lw
	;; [unrolled: 15-line block ×4, first 2 shown]

/* Handle local read and global write */
s_waitcnt lgkmcnt(0)                               // wait for LDS write
s_barrier //wait all lds write finished

_ds_load_b128 v[20:23], v8, offset:0               // storeRemap lr
_ds_load_b128 v[24:27], v8, offset:1088            // storeRemap lr

v_mov_b32 v18, v6                                  // coord1
v_mul_lo_u32 v18, v18, s[sgprStrideD1J]            // coord1 offset =  coord1 * StrideD
_v_add_lshl_u32 v18, v18, v4, 0x0                  // global write D address
s_waitcnt lgkmcnt(1)                               // wait for LDS read
_buffer_store_b128 v[20:23], v18, s[sgprSrdD:sgprSrdD+3], 0, offen, offset:0 // store D
_v_add_u32 v18, v6, 4                              // coord1 += nColPerLoad
v_mul_lo_u32 v18, v18, s[sgprStrideD1J]            // coord1 offset =  coord1 * StrideD
_v_add_lshl_u32 v18, v18, v4, 0x0                  // global write D address
s_waitcnt lgkmcnt(0)                               // wait for LDS read
_buffer_store_b128 v[24:27], v18, s[sgprSrdD:sgprSrdD+3], 0, offen, offset:0 // store D

s_barrier //wait all lds read finished
s_nop 0                                            // 1 wait state required when next inst writes vgprs held by previous dwordx4 store inst
/* optSingleColVgpr=1 optSharedColVgpr=0 optSGPRUsage=BufferLoad_Mask optSrdIncForRow=1 */

/******************************************/
/* Global Write Alpha Batch #5 (d1,d0,vc1,vc0) = */
/*    (5,0,0,0:vw4); (5,1,0,0:vw4); (5,2,0,0:vw4); (5,3,0,0:vw4); (5,4,0,0:vw4); (5,5,0,0:vw4); (5,6,0,0:vw4); (5,7,0,0:vw4) */
/******************************************/

/* calc coords, apply mask, and issue loads (if necessary) */
/* (d1,vc1,d0,vc0)=(5,0,0,0) */
/* (d1,vc1,d0,vc0)=(5,0,1,0) */
	;; [unrolled: 1-line block ×8, first 2 shown]
v_accvgpr_read_b32 v[vgprValuC+20], acc160 // copy acc to vreg[160]
v_accvgpr_read_b32 v[vgprValuC+21], acc161 // copy acc to vreg[161]
v_accvgpr_read_b32 v[vgprValuC+22], acc162 // copy acc to vreg[162]
v_accvgpr_read_b32 v[vgprValuC+23], acc163 // copy acc to vreg[163]
v_accvgpr_read_b32 v[vgprValuC+24], acc164 // copy acc to vreg[164]
v_accvgpr_read_b32 v[vgprValuC+25], acc165 // copy acc to vreg[165]
v_accvgpr_read_b32 v[vgprValuC+26], acc166 // copy acc to vreg[166]
v_accvgpr_read_b32 v[vgprValuC+27], acc167 // copy acc to vreg[167]
v_accvgpr_read_b32 v[vgprValuC+28], acc168 // copy acc to vreg[168]
v_accvgpr_read_b32 v[vgprValuC+29], acc169 // copy acc to vreg[169]
v_accvgpr_read_b32 v[vgprValuC+30], acc170 // copy acc to vreg[170]
v_accvgpr_read_b32 v[vgprValuC+31], acc171 // copy acc to vreg[171]
v_accvgpr_read_b32 v[vgprValuC+32], acc172 // copy acc to vreg[172]
v_accvgpr_read_b32 v[vgprValuC+33], acc173 // copy acc to vreg[173]
v_accvgpr_read_b32 v[vgprValuC+34], acc174 // copy acc to vreg[174]
v_accvgpr_read_b32 v[vgprValuC+35], acc175 // copy acc to vreg[175]
v_accvgpr_read_b32 v[vgprValuC+36], acc176 // copy acc to vreg[176]
v_accvgpr_read_b32 v[vgprValuC+37], acc177 // copy acc to vreg[177]
v_accvgpr_read_b32 v[vgprValuC+38], acc178 // copy acc to vreg[178]
v_accvgpr_read_b32 v[vgprValuC+39], acc179 // copy acc to vreg[179]
v_accvgpr_read_b32 v[vgprValuC+40], acc180 // copy acc to vreg[180]
v_accvgpr_read_b32 v[vgprValuC+41], acc181 // copy acc to vreg[181]
v_accvgpr_read_b32 v[vgprValuC+42], acc182 // copy acc to vreg[182]
v_accvgpr_read_b32 v[vgprValuC+43], acc183 // copy acc to vreg[183]
v_accvgpr_read_b32 v[vgprValuC+44], acc184 // copy acc to vreg[184]
v_accvgpr_read_b32 v[vgprValuC+45], acc185 // copy acc to vreg[185]
v_accvgpr_read_b32 v[vgprValuC+46], acc186 // copy acc to vreg[186]
v_accvgpr_read_b32 v[vgprValuC+47], acc187 // copy acc to vreg[187]
v_accvgpr_read_b32 v[vgprValuC+48], acc188 // copy acc to vreg[188]
v_accvgpr_read_b32 v[vgprValuC+49], acc189 // copy acc to vreg[189]
v_accvgpr_read_b32 v[vgprValuC+50], acc190 // copy acc to vreg[190]
v_accvgpr_read_b32 v[vgprValuC+51], acc191 // copy acc to vreg[191]
s_nop 1                                            // 2 wait states required before reading vgpr

/* rC *= alpha batchElements=[(5, 0, 0, 0), (5, 1, 0, 0), (5, 2, 0, 0), (5, 3, 0, 0), (5, 4, 0, 0), (5, 5, 0, 0), (5, 6, 0, 0), (5, 7, 0, 0)] */
v_mul_f32 v[vgprValuC+20], s[sgprAlpha], v[vgprValuC+20] // *= alpha
v_mul_f32 v[vgprValuC+21], s[sgprAlpha], v[vgprValuC+21] // *= alpha
	;; [unrolled: 1-line block ×32, first 2 shown]

/* apply mask, calc new C and issue writes */
v_mov_b32 v16, 0x207                               // flag for Nan and +/- inf
v_mov_b32 v14, 0x43700000                          // save 240.0f as max for clipping
v_mov_b32 v15, 0xC3700000                          // save -240.0f as min for clipping

/* StoreRemap: shift coord1 address */
s_mul_i32 s54, s[sgprStrideD1J], 32                // scale StrideD *= numRows(32) * bpe
s_add_u32  s[sgprSrdD+0], s[sgprSrdD+0], s54       // incToNextRow: gra SRD += inc(lower)
s_addc_u32  s[sgprSrdD+1], s[sgprSrdD+1], 0        // incToNextRow: gra SRD += inc(upper)
v_mov_b32 v10, 32                                  // set shift rows
_v_add_u32 v5, v5, v10                             // shift storeRemap coord1
v_cmp_class_f32 s[54:55], v[vgprValuC+20], v16     // check NaN and +/-INF
v_med3_f32 v12, v[vgprValuC+20], v14, v15          // Clipping f32 value if exceeds the limit
v_cndmask_b32 v12, v12, v[vgprValuC+20], s[54:55]  // 
v_cmp_class_f32 s[54:55], v[vgprValuC+21], v16     // check NaN and +/-INF
v_med3_f32 v13, v[vgprValuC+21], v14, v15          // Clipping f32 value if exceeds the limit
v_cndmask_b32 v13, v13, v[vgprValuC+21], s[54:55]  // 
v_cvt_pk_fp8_f32  v20, v12, v13 op_sel:[0,0,0]     // convert two f32 accumulated values to fp8 and save it to lo_16[0:15]
v_cmp_class_f32 s[54:55], v[vgprValuC+22], v16     // check NaN and +/-INF
v_med3_f32 v12, v[vgprValuC+22], v14, v15          // Clipping f32 value if exceeds the limit
v_cndmask_b32 v12, v12, v[vgprValuC+22], s[54:55]  // 
v_cmp_class_f32 s[54:55], v[vgprValuC+23], v16     // check NaN and +/-INF
v_med3_f32 v13, v[vgprValuC+23], v14, v15          // Clipping f32 value if exceeds the limit
v_cndmask_b32 v13, v13, v[vgprValuC+23], s[54:55]  // 
v_cvt_pk_fp8_f32  v20, v12, v13 op_sel:[0,0,1]     // convert two f32 accumulated values to fp8 and save it to hi_16[16:31]
_ds_store_b32 v7, v20, offset:0                    // storeRemap lw
v_cmp_class_f32 s[54:55], v[vgprValuC+24], v16     // check NaN and +/-INF
v_med3_f32 v12, v[vgprValuC+24], v14, v15          // Clipping f32 value if exceeds the limit
v_cndmask_b32 v12, v12, v[vgprValuC+24], s[54:55]  // 
v_cmp_class_f32 s[54:55], v[vgprValuC+25], v16     // check NaN and +/-INF
v_med3_f32 v13, v[vgprValuC+25], v14, v15          // Clipping f32 value if exceeds the limit
v_cndmask_b32 v13, v13, v[vgprValuC+25], s[54:55]  // 
v_cvt_pk_fp8_f32  v24, v12, v13 op_sel:[0,0,0]     // convert two f32 accumulated values to fp8 and save it to lo_16[0:15]
v_cmp_class_f32 s[54:55], v[vgprValuC+26], v16     // check NaN and +/-INF
v_med3_f32 v12, v[vgprValuC+26], v14, v15          // Clipping f32 value if exceeds the limit
v_cndmask_b32 v12, v12, v[vgprValuC+26], s[54:55]  // 
v_cmp_class_f32 s[54:55], v[vgprValuC+27], v16     // check NaN and +/-INF
v_med3_f32 v13, v[vgprValuC+27], v14, v15          // Clipping f32 value if exceeds the limit
v_cndmask_b32 v13, v13, v[vgprValuC+27], s[54:55]  // 
v_cvt_pk_fp8_f32  v24, v12, v13 op_sel:[0,0,1]     // convert two f32 accumulated values to fp8 and save it to hi_16[16:31]
_ds_store_b32 v7, v24, offset:8                    // storeRemap lw
v_cmp_class_f32 s[54:55], v[vgprValuC+28], v16     // check NaN and +/-INF
v_med3_f32 v12, v[vgprValuC+28], v14, v15          // Clipping f32 value if exceeds the limit
v_cndmask_b32 v12, v12, v[vgprValuC+28], s[54:55]  // 
v_cmp_class_f32 s[54:55], v[vgprValuC+29], v16     // check NaN and +/-INF
v_med3_f32 v13, v[vgprValuC+29], v14, v15          // Clipping f32 value if exceeds the limit
v_cndmask_b32 v13, v13, v[vgprValuC+29], s[54:55]  // 
v_cvt_pk_fp8_f32  v28, v12, v13 op_sel:[0,0,0]     // convert two f32 accumulated values to fp8 and save it to lo_16[0:15]
v_cmp_class_f32 s[54:55], v[vgprValuC+30], v16     // check NaN and +/-INF
v_med3_f32 v12, v[vgprValuC+30], v14, v15          // Clipping f32 value if exceeds the limit
v_cndmask_b32 v12, v12, v[vgprValuC+30], s[54:55]  // 
v_cmp_class_f32 s[54:55], v[vgprValuC+31], v16     // check NaN and +/-INF
v_med3_f32 v13, v[vgprValuC+31], v14, v15          // Clipping f32 value if exceeds the limit
v_cndmask_b32 v13, v13, v[vgprValuC+31], s[54:55]  // 
v_cvt_pk_fp8_f32  v28, v12, v13 op_sel:[0,0,1]     // convert two f32 accumulated values to fp8 and save it to hi_16[16:31]
_ds_store_b32 v7, v28, offset:16                   // storeRemap lw
v_cmp_class_f32 s[54:55], v[vgprValuC+32], v16     // check NaN and +/-INF
v_med3_f32 v12, v[vgprValuC+32], v14, v15          // Clipping f32 value if exceeds the limit
v_cndmask_b32 v12, v12, v[vgprValuC+32], s[54:55]  // 
v_cmp_class_f32 s[54:55], v[vgprValuC+33], v16     // check NaN and +/-INF
v_med3_f32 v13, v[vgprValuC+33], v14, v15          // Clipping f32 value if exceeds the limit
v_cndmask_b32 v13, v13, v[vgprValuC+33], s[54:55]  // 
v_cvt_pk_fp8_f32  v32, v12, v13 op_sel:[0,0,0]     // convert two f32 accumulated values to fp8 and save it to lo_16[0:15]
v_cmp_class_f32 s[54:55], v[vgprValuC+34], v16     // check NaN and +/-INF
v_med3_f32 v12, v[vgprValuC+34], v14, v15          // Clipping f32 value if exceeds the limit
v_cndmask_b32 v12, v12, v[vgprValuC+34], s[54:55]  // 
v_cmp_class_f32 s[54:55], v[vgprValuC+35], v16     // check NaN and +/-INF
v_med3_f32 v13, v[vgprValuC+35], v14, v15          // Clipping f32 value if exceeds the limit
v_cndmask_b32 v13, v13, v[vgprValuC+35], s[54:55]  // 
v_cvt_pk_fp8_f32  v32, v12, v13 op_sel:[0,0,1]     // convert two f32 accumulated values to fp8 and save it to hi_16[16:31]
_ds_store_b32 v7, v32, offset:24                   // storeRemap lw
v_cmp_class_f32 s[54:55], v[vgprValuC+36], v16     // check NaN and +/-INF
v_med3_f32 v12, v[vgprValuC+36], v14, v15          // Clipping f32 value if exceeds the limit
v_cndmask_b32 v12, v12, v[vgprValuC+36], s[54:55]  // 
v_cmp_class_f32 s[54:55], v[vgprValuC+37], v16     // check NaN and +/-INF
v_med3_f32 v13, v[vgprValuC+37], v14, v15          // Clipping f32 value if exceeds the limit
v_cndmask_b32 v13, v13, v[vgprValuC+37], s[54:55]  // 
v_cvt_pk_fp8_f32  v36, v12, v13 op_sel:[0,0,0]     // convert two f32 accumulated values to fp8 and save it to lo_16[0:15]
v_cmp_class_f32 s[54:55], v[vgprValuC+38], v16     // check NaN and +/-INF
v_med3_f32 v12, v[vgprValuC+38], v14, v15          // Clipping f32 value if exceeds the limit
v_cndmask_b32 v12, v12, v[vgprValuC+38], s[54:55]  // 
v_cmp_class_f32 s[54:55], v[vgprValuC+39], v16     // check NaN and +/-INF
v_med3_f32 v13, v[vgprValuC+39], v14, v15          // Clipping f32 value if exceeds the limit
v_cndmask_b32 v13, v13, v[vgprValuC+39], s[54:55]  // 
v_cvt_pk_fp8_f32  v36, v12, v13 op_sel:[0,0,1]     // convert two f32 accumulated values to fp8 and save it to hi_16[16:31]
_ds_store_b32 v7, v36, offset:128                  // storeRemap lw
v_cmp_class_f32 s[54:55], v[vgprValuC+40], v16     // check NaN and +/-INF
v_med3_f32 v12, v[vgprValuC+40], v14, v15          // Clipping f32 value if exceeds the limit
v_cndmask_b32 v12, v12, v[vgprValuC+40], s[54:55]  // 
v_cmp_class_f32 s[54:55], v[vgprValuC+41], v16     // check NaN and +/-INF
v_med3_f32 v13, v[vgprValuC+41], v14, v15          // Clipping f32 value if exceeds the limit
v_cndmask_b32 v13, v13, v[vgprValuC+41], s[54:55]  // 
v_cvt_pk_fp8_f32  v40, v12, v13 op_sel:[0,0,0]     // convert two f32 accumulated values to fp8 and save it to lo_16[0:15]
v_cmp_class_f32 s[54:55], v[vgprValuC+42], v16     // check NaN and +/-INF
v_med3_f32 v12, v[vgprValuC+42], v14, v15          // Clipping f32 value if exceeds the limit
v_cndmask_b32 v12, v12, v[vgprValuC+42], s[54:55]  // 
v_cmp_class_f32 s[54:55], v[vgprValuC+43], v16     // check NaN and +/-INF
v_med3_f32 v13, v[vgprValuC+43], v14, v15          // Clipping f32 value if exceeds the limit
v_cndmask_b32 v13, v13, v[vgprValuC+43], s[54:55]  // 
v_cvt_pk_fp8_f32  v40, v12, v13 op_sel:[0,0,1]     // convert two f32 accumulated values to fp8 and save it to hi_16[16:31]
_ds_store_b32 v7, v40, offset:136                  // storeRemap lw
	;; [unrolled: 15-line block ×4, first 2 shown]

/* Handle local read and global write */
s_waitcnt lgkmcnt(0)                               // wait for LDS write
s_barrier //wait all lds write finished

_ds_load_b128 v[20:23], v8, offset:0               // storeRemap lr
_ds_load_b128 v[24:27], v8, offset:1088            // storeRemap lr

v_mov_b32 v18, v6                                  // coord1
v_mul_lo_u32 v18, v18, s[sgprStrideD1J]            // coord1 offset =  coord1 * StrideD
_v_add_lshl_u32 v18, v18, v4, 0x0                  // global write D address
s_waitcnt lgkmcnt(1)                               // wait for LDS read
_buffer_store_b128 v[20:23], v18, s[sgprSrdD:sgprSrdD+3], 0, offen, offset:0 // store D
_v_add_u32 v18, v6, 4                              // coord1 += nColPerLoad
v_mul_lo_u32 v18, v18, s[sgprStrideD1J]            // coord1 offset =  coord1 * StrideD
_v_add_lshl_u32 v18, v18, v4, 0x0                  // global write D address
s_waitcnt lgkmcnt(0)                               // wait for LDS read
_buffer_store_b128 v[24:27], v18, s[sgprSrdD:sgprSrdD+3], 0, offen, offset:0 // store D

s_barrier //wait all lds read finished
s_nop 0                                            // 1 wait state required when next inst writes vgprs held by previous dwordx4 store inst
/* optSingleColVgpr=1 optSharedColVgpr=0 optSGPRUsage=BufferLoad_Mask optSrdIncForRow=1 */

/******************************************/
/* Global Write Alpha Batch #6 (d1,d0,vc1,vc0) = */
/*    (6,0,0,0:vw4); (6,1,0,0:vw4); (6,2,0,0:vw4); (6,3,0,0:vw4); (6,4,0,0:vw4); (6,5,0,0:vw4); (6,6,0,0:vw4); (6,7,0,0:vw4) */
/******************************************/

/* calc coords, apply mask, and issue loads (if necessary) */
/* (d1,vc1,d0,vc0)=(6,0,0,0) */
/* (d1,vc1,d0,vc0)=(6,0,1,0) */
	;; [unrolled: 1-line block ×8, first 2 shown]
v_accvgpr_read_b32 v[vgprValuC+20], acc192 // copy acc to vreg[192]
v_accvgpr_read_b32 v[vgprValuC+21], acc193 // copy acc to vreg[193]
v_accvgpr_read_b32 v[vgprValuC+22], acc194 // copy acc to vreg[194]
v_accvgpr_read_b32 v[vgprValuC+23], acc195 // copy acc to vreg[195]
v_accvgpr_read_b32 v[vgprValuC+24], acc196 // copy acc to vreg[196]
v_accvgpr_read_b32 v[vgprValuC+25], acc197 // copy acc to vreg[197]
v_accvgpr_read_b32 v[vgprValuC+26], acc198 // copy acc to vreg[198]
v_accvgpr_read_b32 v[vgprValuC+27], acc199 // copy acc to vreg[199]
v_accvgpr_read_b32 v[vgprValuC+28], acc200 // copy acc to vreg[200]
v_accvgpr_read_b32 v[vgprValuC+29], acc201 // copy acc to vreg[201]
v_accvgpr_read_b32 v[vgprValuC+30], acc202 // copy acc to vreg[202]
v_accvgpr_read_b32 v[vgprValuC+31], acc203 // copy acc to vreg[203]
v_accvgpr_read_b32 v[vgprValuC+32], acc204 // copy acc to vreg[204]
v_accvgpr_read_b32 v[vgprValuC+33], acc205 // copy acc to vreg[205]
v_accvgpr_read_b32 v[vgprValuC+34], acc206 // copy acc to vreg[206]
v_accvgpr_read_b32 v[vgprValuC+35], acc207 // copy acc to vreg[207]
v_accvgpr_read_b32 v[vgprValuC+36], acc208 // copy acc to vreg[208]
v_accvgpr_read_b32 v[vgprValuC+37], acc209 // copy acc to vreg[209]
v_accvgpr_read_b32 v[vgprValuC+38], acc210 // copy acc to vreg[210]
v_accvgpr_read_b32 v[vgprValuC+39], acc211 // copy acc to vreg[211]
v_accvgpr_read_b32 v[vgprValuC+40], acc212 // copy acc to vreg[212]
v_accvgpr_read_b32 v[vgprValuC+41], acc213 // copy acc to vreg[213]
v_accvgpr_read_b32 v[vgprValuC+42], acc214 // copy acc to vreg[214]
v_accvgpr_read_b32 v[vgprValuC+43], acc215 // copy acc to vreg[215]
v_accvgpr_read_b32 v[vgprValuC+44], acc216 // copy acc to vreg[216]
v_accvgpr_read_b32 v[vgprValuC+45], acc217 // copy acc to vreg[217]
v_accvgpr_read_b32 v[vgprValuC+46], acc218 // copy acc to vreg[218]
v_accvgpr_read_b32 v[vgprValuC+47], acc219 // copy acc to vreg[219]
v_accvgpr_read_b32 v[vgprValuC+48], acc220 // copy acc to vreg[220]
v_accvgpr_read_b32 v[vgprValuC+49], acc221 // copy acc to vreg[221]
v_accvgpr_read_b32 v[vgprValuC+50], acc222 // copy acc to vreg[222]
v_accvgpr_read_b32 v[vgprValuC+51], acc223 // copy acc to vreg[223]
s_nop 1                                            // 2 wait states required before reading vgpr

/* rC *= alpha batchElements=[(6, 0, 0, 0), (6, 1, 0, 0), (6, 2, 0, 0), (6, 3, 0, 0), (6, 4, 0, 0), (6, 5, 0, 0), (6, 6, 0, 0), (6, 7, 0, 0)] */
v_mul_f32 v[vgprValuC+20], s[sgprAlpha], v[vgprValuC+20] // *= alpha
v_mul_f32 v[vgprValuC+21], s[sgprAlpha], v[vgprValuC+21] // *= alpha
	;; [unrolled: 1-line block ×32, first 2 shown]

/* apply mask, calc new C and issue writes */
v_mov_b32 v16, 0x207                               // flag for Nan and +/- inf
v_mov_b32 v14, 0x43700000                          // save 240.0f as max for clipping
v_mov_b32 v15, 0xC3700000                          // save -240.0f as min for clipping

/* StoreRemap: shift coord1 address */
s_mul_i32 s54, s[sgprStrideD1J], 32                // scale StrideD *= numRows(32) * bpe
s_add_u32  s[sgprSrdD+0], s[sgprSrdD+0], s54       // incToNextRow: gra SRD += inc(lower)
s_addc_u32  s[sgprSrdD+1], s[sgprSrdD+1], 0        // incToNextRow: gra SRD += inc(upper)
v_mov_b32 v10, 32                                  // set shift rows
_v_add_u32 v5, v5, v10                             // shift storeRemap coord1
v_cmp_class_f32 s[54:55], v[vgprValuC+20], v16     // check NaN and +/-INF
v_med3_f32 v12, v[vgprValuC+20], v14, v15          // Clipping f32 value if exceeds the limit
v_cndmask_b32 v12, v12, v[vgprValuC+20], s[54:55]  // 
v_cmp_class_f32 s[54:55], v[vgprValuC+21], v16     // check NaN and +/-INF
v_med3_f32 v13, v[vgprValuC+21], v14, v15          // Clipping f32 value if exceeds the limit
v_cndmask_b32 v13, v13, v[vgprValuC+21], s[54:55]  // 
v_cvt_pk_fp8_f32  v20, v12, v13 op_sel:[0,0,0]     // convert two f32 accumulated values to fp8 and save it to lo_16[0:15]
v_cmp_class_f32 s[54:55], v[vgprValuC+22], v16     // check NaN and +/-INF
v_med3_f32 v12, v[vgprValuC+22], v14, v15          // Clipping f32 value if exceeds the limit
v_cndmask_b32 v12, v12, v[vgprValuC+22], s[54:55]  // 
v_cmp_class_f32 s[54:55], v[vgprValuC+23], v16     // check NaN and +/-INF
v_med3_f32 v13, v[vgprValuC+23], v14, v15          // Clipping f32 value if exceeds the limit
v_cndmask_b32 v13, v13, v[vgprValuC+23], s[54:55]  // 
v_cvt_pk_fp8_f32  v20, v12, v13 op_sel:[0,0,1]     // convert two f32 accumulated values to fp8 and save it to hi_16[16:31]
_ds_store_b32 v7, v20, offset:0                    // storeRemap lw
v_cmp_class_f32 s[54:55], v[vgprValuC+24], v16     // check NaN and +/-INF
v_med3_f32 v12, v[vgprValuC+24], v14, v15          // Clipping f32 value if exceeds the limit
v_cndmask_b32 v12, v12, v[vgprValuC+24], s[54:55]  // 
v_cmp_class_f32 s[54:55], v[vgprValuC+25], v16     // check NaN and +/-INF
v_med3_f32 v13, v[vgprValuC+25], v14, v15          // Clipping f32 value if exceeds the limit
v_cndmask_b32 v13, v13, v[vgprValuC+25], s[54:55]  // 
v_cvt_pk_fp8_f32  v24, v12, v13 op_sel:[0,0,0]     // convert two f32 accumulated values to fp8 and save it to lo_16[0:15]
v_cmp_class_f32 s[54:55], v[vgprValuC+26], v16     // check NaN and +/-INF
v_med3_f32 v12, v[vgprValuC+26], v14, v15          // Clipping f32 value if exceeds the limit
v_cndmask_b32 v12, v12, v[vgprValuC+26], s[54:55]  // 
v_cmp_class_f32 s[54:55], v[vgprValuC+27], v16     // check NaN and +/-INF
v_med3_f32 v13, v[vgprValuC+27], v14, v15          // Clipping f32 value if exceeds the limit
v_cndmask_b32 v13, v13, v[vgprValuC+27], s[54:55]  // 
v_cvt_pk_fp8_f32  v24, v12, v13 op_sel:[0,0,1]     // convert two f32 accumulated values to fp8 and save it to hi_16[16:31]
_ds_store_b32 v7, v24, offset:8                    // storeRemap lw
v_cmp_class_f32 s[54:55], v[vgprValuC+28], v16     // check NaN and +/-INF
v_med3_f32 v12, v[vgprValuC+28], v14, v15          // Clipping f32 value if exceeds the limit
v_cndmask_b32 v12, v12, v[vgprValuC+28], s[54:55]  // 
v_cmp_class_f32 s[54:55], v[vgprValuC+29], v16     // check NaN and +/-INF
v_med3_f32 v13, v[vgprValuC+29], v14, v15          // Clipping f32 value if exceeds the limit
v_cndmask_b32 v13, v13, v[vgprValuC+29], s[54:55]  // 
v_cvt_pk_fp8_f32  v28, v12, v13 op_sel:[0,0,0]     // convert two f32 accumulated values to fp8 and save it to lo_16[0:15]
v_cmp_class_f32 s[54:55], v[vgprValuC+30], v16     // check NaN and +/-INF
v_med3_f32 v12, v[vgprValuC+30], v14, v15          // Clipping f32 value if exceeds the limit
v_cndmask_b32 v12, v12, v[vgprValuC+30], s[54:55]  // 
v_cmp_class_f32 s[54:55], v[vgprValuC+31], v16     // check NaN and +/-INF
v_med3_f32 v13, v[vgprValuC+31], v14, v15          // Clipping f32 value if exceeds the limit
v_cndmask_b32 v13, v13, v[vgprValuC+31], s[54:55]  // 
v_cvt_pk_fp8_f32  v28, v12, v13 op_sel:[0,0,1]     // convert two f32 accumulated values to fp8 and save it to hi_16[16:31]
_ds_store_b32 v7, v28, offset:16                   // storeRemap lw
v_cmp_class_f32 s[54:55], v[vgprValuC+32], v16     // check NaN and +/-INF
v_med3_f32 v12, v[vgprValuC+32], v14, v15          // Clipping f32 value if exceeds the limit
v_cndmask_b32 v12, v12, v[vgprValuC+32], s[54:55]  // 
v_cmp_class_f32 s[54:55], v[vgprValuC+33], v16     // check NaN and +/-INF
v_med3_f32 v13, v[vgprValuC+33], v14, v15          // Clipping f32 value if exceeds the limit
v_cndmask_b32 v13, v13, v[vgprValuC+33], s[54:55]  // 
v_cvt_pk_fp8_f32  v32, v12, v13 op_sel:[0,0,0]     // convert two f32 accumulated values to fp8 and save it to lo_16[0:15]
v_cmp_class_f32 s[54:55], v[vgprValuC+34], v16     // check NaN and +/-INF
v_med3_f32 v12, v[vgprValuC+34], v14, v15          // Clipping f32 value if exceeds the limit
v_cndmask_b32 v12, v12, v[vgprValuC+34], s[54:55]  // 
v_cmp_class_f32 s[54:55], v[vgprValuC+35], v16     // check NaN and +/-INF
v_med3_f32 v13, v[vgprValuC+35], v14, v15          // Clipping f32 value if exceeds the limit
v_cndmask_b32 v13, v13, v[vgprValuC+35], s[54:55]  // 
v_cvt_pk_fp8_f32  v32, v12, v13 op_sel:[0,0,1]     // convert two f32 accumulated values to fp8 and save it to hi_16[16:31]
_ds_store_b32 v7, v32, offset:24                   // storeRemap lw
v_cmp_class_f32 s[54:55], v[vgprValuC+36], v16     // check NaN and +/-INF
v_med3_f32 v12, v[vgprValuC+36], v14, v15          // Clipping f32 value if exceeds the limit
v_cndmask_b32 v12, v12, v[vgprValuC+36], s[54:55]  // 
v_cmp_class_f32 s[54:55], v[vgprValuC+37], v16     // check NaN and +/-INF
v_med3_f32 v13, v[vgprValuC+37], v14, v15          // Clipping f32 value if exceeds the limit
v_cndmask_b32 v13, v13, v[vgprValuC+37], s[54:55]  // 
v_cvt_pk_fp8_f32  v36, v12, v13 op_sel:[0,0,0]     // convert two f32 accumulated values to fp8 and save it to lo_16[0:15]
v_cmp_class_f32 s[54:55], v[vgprValuC+38], v16     // check NaN and +/-INF
v_med3_f32 v12, v[vgprValuC+38], v14, v15          // Clipping f32 value if exceeds the limit
v_cndmask_b32 v12, v12, v[vgprValuC+38], s[54:55]  // 
v_cmp_class_f32 s[54:55], v[vgprValuC+39], v16     // check NaN and +/-INF
v_med3_f32 v13, v[vgprValuC+39], v14, v15          // Clipping f32 value if exceeds the limit
v_cndmask_b32 v13, v13, v[vgprValuC+39], s[54:55]  // 
v_cvt_pk_fp8_f32  v36, v12, v13 op_sel:[0,0,1]     // convert two f32 accumulated values to fp8 and save it to hi_16[16:31]
_ds_store_b32 v7, v36, offset:128                  // storeRemap lw
v_cmp_class_f32 s[54:55], v[vgprValuC+40], v16     // check NaN and +/-INF
v_med3_f32 v12, v[vgprValuC+40], v14, v15          // Clipping f32 value if exceeds the limit
v_cndmask_b32 v12, v12, v[vgprValuC+40], s[54:55]  // 
v_cmp_class_f32 s[54:55], v[vgprValuC+41], v16     // check NaN and +/-INF
v_med3_f32 v13, v[vgprValuC+41], v14, v15          // Clipping f32 value if exceeds the limit
v_cndmask_b32 v13, v13, v[vgprValuC+41], s[54:55]  // 
v_cvt_pk_fp8_f32  v40, v12, v13 op_sel:[0,0,0]     // convert two f32 accumulated values to fp8 and save it to lo_16[0:15]
v_cmp_class_f32 s[54:55], v[vgprValuC+42], v16     // check NaN and +/-INF
v_med3_f32 v12, v[vgprValuC+42], v14, v15          // Clipping f32 value if exceeds the limit
v_cndmask_b32 v12, v12, v[vgprValuC+42], s[54:55]  // 
v_cmp_class_f32 s[54:55], v[vgprValuC+43], v16     // check NaN and +/-INF
v_med3_f32 v13, v[vgprValuC+43], v14, v15          // Clipping f32 value if exceeds the limit
v_cndmask_b32 v13, v13, v[vgprValuC+43], s[54:55]  // 
v_cvt_pk_fp8_f32  v40, v12, v13 op_sel:[0,0,1]     // convert two f32 accumulated values to fp8 and save it to hi_16[16:31]
_ds_store_b32 v7, v40, offset:136                  // storeRemap lw
	;; [unrolled: 15-line block ×4, first 2 shown]

/* Handle local read and global write */
s_waitcnt lgkmcnt(0)                               // wait for LDS write
s_barrier //wait all lds write finished

_ds_load_b128 v[20:23], v8, offset:0               // storeRemap lr
_ds_load_b128 v[24:27], v8, offset:1088            // storeRemap lr

v_mov_b32 v18, v6                                  // coord1
v_mul_lo_u32 v18, v18, s[sgprStrideD1J]            // coord1 offset =  coord1 * StrideD
_v_add_lshl_u32 v18, v18, v4, 0x0                  // global write D address
s_waitcnt lgkmcnt(1)                               // wait for LDS read
_buffer_store_b128 v[20:23], v18, s[sgprSrdD:sgprSrdD+3], 0, offen, offset:0 // store D
_v_add_u32 v18, v6, 4                              // coord1 += nColPerLoad
v_mul_lo_u32 v18, v18, s[sgprStrideD1J]            // coord1 offset =  coord1 * StrideD
_v_add_lshl_u32 v18, v18, v4, 0x0                  // global write D address
s_waitcnt lgkmcnt(0)                               // wait for LDS read
_buffer_store_b128 v[24:27], v18, s[sgprSrdD:sgprSrdD+3], 0, offen, offset:0 // store D

s_barrier //wait all lds read finished
s_nop 0                                            // 1 wait state required when next inst writes vgprs held by previous dwordx4 store inst
/* optSingleColVgpr=1 optSharedColVgpr=0 optSGPRUsage=BufferLoad_Mask optSrdIncForRow=1 */

/******************************************/
/* Global Write Alpha Batch #7 (d1,d0,vc1,vc0) = */
/*    (7,0,0,0:vw4); (7,1,0,0:vw4); (7,2,0,0:vw4); (7,3,0,0:vw4); (7,4,0,0:vw4); (7,5,0,0:vw4); (7,6,0,0:vw4); (7,7,0,0:vw4) */
/******************************************/

/* calc coords, apply mask, and issue loads (if necessary) */
/* (d1,vc1,d0,vc0)=(7,0,0,0) */
/* (d1,vc1,d0,vc0)=(7,0,1,0) */
	;; [unrolled: 1-line block ×8, first 2 shown]
v_accvgpr_read_b32 v[vgprValuC+20], acc224 // copy acc to vreg[224]
v_accvgpr_read_b32 v[vgprValuC+21], acc225 // copy acc to vreg[225]
v_accvgpr_read_b32 v[vgprValuC+22], acc226 // copy acc to vreg[226]
v_accvgpr_read_b32 v[vgprValuC+23], acc227 // copy acc to vreg[227]
v_accvgpr_read_b32 v[vgprValuC+24], acc228 // copy acc to vreg[228]
v_accvgpr_read_b32 v[vgprValuC+25], acc229 // copy acc to vreg[229]
v_accvgpr_read_b32 v[vgprValuC+26], acc230 // copy acc to vreg[230]
v_accvgpr_read_b32 v[vgprValuC+27], acc231 // copy acc to vreg[231]
v_accvgpr_read_b32 v[vgprValuC+28], acc232 // copy acc to vreg[232]
v_accvgpr_read_b32 v[vgprValuC+29], acc233 // copy acc to vreg[233]
v_accvgpr_read_b32 v[vgprValuC+30], acc234 // copy acc to vreg[234]
v_accvgpr_read_b32 v[vgprValuC+31], acc235 // copy acc to vreg[235]
v_accvgpr_read_b32 v[vgprValuC+32], acc236 // copy acc to vreg[236]
v_accvgpr_read_b32 v[vgprValuC+33], acc237 // copy acc to vreg[237]
v_accvgpr_read_b32 v[vgprValuC+34], acc238 // copy acc to vreg[238]
v_accvgpr_read_b32 v[vgprValuC+35], acc239 // copy acc to vreg[239]
v_accvgpr_read_b32 v[vgprValuC+36], acc240 // copy acc to vreg[240]
v_accvgpr_read_b32 v[vgprValuC+37], acc241 // copy acc to vreg[241]
v_accvgpr_read_b32 v[vgprValuC+38], acc242 // copy acc to vreg[242]
v_accvgpr_read_b32 v[vgprValuC+39], acc243 // copy acc to vreg[243]
v_accvgpr_read_b32 v[vgprValuC+40], acc244 // copy acc to vreg[244]
v_accvgpr_read_b32 v[vgprValuC+41], acc245 // copy acc to vreg[245]
v_accvgpr_read_b32 v[vgprValuC+42], acc246 // copy acc to vreg[246]
v_accvgpr_read_b32 v[vgprValuC+43], acc247 // copy acc to vreg[247]
v_accvgpr_read_b32 v[vgprValuC+44], acc248 // copy acc to vreg[248]
v_accvgpr_read_b32 v[vgprValuC+45], acc249 // copy acc to vreg[249]
v_accvgpr_read_b32 v[vgprValuC+46], acc250 // copy acc to vreg[250]
v_accvgpr_read_b32 v[vgprValuC+47], acc251 // copy acc to vreg[251]
v_accvgpr_read_b32 v[vgprValuC+48], acc252 // copy acc to vreg[252]
v_accvgpr_read_b32 v[vgprValuC+49], acc253 // copy acc to vreg[253]
v_accvgpr_read_b32 v[vgprValuC+50], acc254 // copy acc to vreg[254]
v_accvgpr_read_b32 v[vgprValuC+51], acc255 // copy acc to vreg[255]
s_nop 1                                            // 2 wait states required before reading vgpr

/* rC *= alpha batchElements=[(7, 0, 0, 0), (7, 1, 0, 0), (7, 2, 0, 0), (7, 3, 0, 0), (7, 4, 0, 0), (7, 5, 0, 0), (7, 6, 0, 0), (7, 7, 0, 0)] */
v_mul_f32 v[vgprValuC+20], s[sgprAlpha], v[vgprValuC+20] // *= alpha
v_mul_f32 v[vgprValuC+21], s[sgprAlpha], v[vgprValuC+21] // *= alpha
	;; [unrolled: 1-line block ×32, first 2 shown]

/* apply mask, calc new C and issue writes */
v_mov_b32 v16, 0x207                               // flag for Nan and +/- inf
v_mov_b32 v14, 0x43700000                          // save 240.0f as max for clipping
v_mov_b32 v15, 0xC3700000                          // save -240.0f as min for clipping

/* StoreRemap: shift coord1 address */
s_mul_i32 s54, s[sgprStrideD1J], 32                // scale StrideD *= numRows(32) * bpe
s_add_u32  s[sgprSrdD+0], s[sgprSrdD+0], s54       // incToNextRow: gra SRD += inc(lower)
s_addc_u32  s[sgprSrdD+1], s[sgprSrdD+1], 0        // incToNextRow: gra SRD += inc(upper)
v_mov_b32 v10, 32                                  // set shift rows
_v_add_u32 v5, v5, v10                             // shift storeRemap coord1
v_cmp_class_f32 s[54:55], v[vgprValuC+20], v16     // check NaN and +/-INF
v_med3_f32 v12, v[vgprValuC+20], v14, v15          // Clipping f32 value if exceeds the limit
v_cndmask_b32 v12, v12, v[vgprValuC+20], s[54:55]  // 
v_cmp_class_f32 s[54:55], v[vgprValuC+21], v16     // check NaN and +/-INF
v_med3_f32 v13, v[vgprValuC+21], v14, v15          // Clipping f32 value if exceeds the limit
v_cndmask_b32 v13, v13, v[vgprValuC+21], s[54:55]  // 
v_cvt_pk_fp8_f32  v20, v12, v13 op_sel:[0,0,0]     // convert two f32 accumulated values to fp8 and save it to lo_16[0:15]
v_cmp_class_f32 s[54:55], v[vgprValuC+22], v16     // check NaN and +/-INF
v_med3_f32 v12, v[vgprValuC+22], v14, v15          // Clipping f32 value if exceeds the limit
v_cndmask_b32 v12, v12, v[vgprValuC+22], s[54:55]  // 
v_cmp_class_f32 s[54:55], v[vgprValuC+23], v16     // check NaN and +/-INF
v_med3_f32 v13, v[vgprValuC+23], v14, v15          // Clipping f32 value if exceeds the limit
v_cndmask_b32 v13, v13, v[vgprValuC+23], s[54:55]  // 
v_cvt_pk_fp8_f32  v20, v12, v13 op_sel:[0,0,1]     // convert two f32 accumulated values to fp8 and save it to hi_16[16:31]
_ds_store_b32 v7, v20, offset:0                    // storeRemap lw
v_cmp_class_f32 s[54:55], v[vgprValuC+24], v16     // check NaN and +/-INF
v_med3_f32 v12, v[vgprValuC+24], v14, v15          // Clipping f32 value if exceeds the limit
v_cndmask_b32 v12, v12, v[vgprValuC+24], s[54:55]  // 
v_cmp_class_f32 s[54:55], v[vgprValuC+25], v16     // check NaN and +/-INF
v_med3_f32 v13, v[vgprValuC+25], v14, v15          // Clipping f32 value if exceeds the limit
v_cndmask_b32 v13, v13, v[vgprValuC+25], s[54:55]  // 
v_cvt_pk_fp8_f32  v24, v12, v13 op_sel:[0,0,0]     // convert two f32 accumulated values to fp8 and save it to lo_16[0:15]
v_cmp_class_f32 s[54:55], v[vgprValuC+26], v16     // check NaN and +/-INF
v_med3_f32 v12, v[vgprValuC+26], v14, v15          // Clipping f32 value if exceeds the limit
v_cndmask_b32 v12, v12, v[vgprValuC+26], s[54:55]  // 
v_cmp_class_f32 s[54:55], v[vgprValuC+27], v16     // check NaN and +/-INF
v_med3_f32 v13, v[vgprValuC+27], v14, v15          // Clipping f32 value if exceeds the limit
v_cndmask_b32 v13, v13, v[vgprValuC+27], s[54:55]  // 
v_cvt_pk_fp8_f32  v24, v12, v13 op_sel:[0,0,1]     // convert two f32 accumulated values to fp8 and save it to hi_16[16:31]
_ds_store_b32 v7, v24, offset:8                    // storeRemap lw
v_cmp_class_f32 s[54:55], v[vgprValuC+28], v16     // check NaN and +/-INF
v_med3_f32 v12, v[vgprValuC+28], v14, v15          // Clipping f32 value if exceeds the limit
v_cndmask_b32 v12, v12, v[vgprValuC+28], s[54:55]  // 
v_cmp_class_f32 s[54:55], v[vgprValuC+29], v16     // check NaN and +/-INF
v_med3_f32 v13, v[vgprValuC+29], v14, v15          // Clipping f32 value if exceeds the limit
v_cndmask_b32 v13, v13, v[vgprValuC+29], s[54:55]  // 
v_cvt_pk_fp8_f32  v28, v12, v13 op_sel:[0,0,0]     // convert two f32 accumulated values to fp8 and save it to lo_16[0:15]
v_cmp_class_f32 s[54:55], v[vgprValuC+30], v16     // check NaN and +/-INF
v_med3_f32 v12, v[vgprValuC+30], v14, v15          // Clipping f32 value if exceeds the limit
v_cndmask_b32 v12, v12, v[vgprValuC+30], s[54:55]  // 
v_cmp_class_f32 s[54:55], v[vgprValuC+31], v16     // check NaN and +/-INF
v_med3_f32 v13, v[vgprValuC+31], v14, v15          // Clipping f32 value if exceeds the limit
v_cndmask_b32 v13, v13, v[vgprValuC+31], s[54:55]  // 
v_cvt_pk_fp8_f32  v28, v12, v13 op_sel:[0,0,1]     // convert two f32 accumulated values to fp8 and save it to hi_16[16:31]
_ds_store_b32 v7, v28, offset:16                   // storeRemap lw
v_cmp_class_f32 s[54:55], v[vgprValuC+32], v16     // check NaN and +/-INF
v_med3_f32 v12, v[vgprValuC+32], v14, v15          // Clipping f32 value if exceeds the limit
v_cndmask_b32 v12, v12, v[vgprValuC+32], s[54:55]  // 
v_cmp_class_f32 s[54:55], v[vgprValuC+33], v16     // check NaN and +/-INF
v_med3_f32 v13, v[vgprValuC+33], v14, v15          // Clipping f32 value if exceeds the limit
v_cndmask_b32 v13, v13, v[vgprValuC+33], s[54:55]  // 
v_cvt_pk_fp8_f32  v32, v12, v13 op_sel:[0,0,0]     // convert two f32 accumulated values to fp8 and save it to lo_16[0:15]
v_cmp_class_f32 s[54:55], v[vgprValuC+34], v16     // check NaN and +/-INF
v_med3_f32 v12, v[vgprValuC+34], v14, v15          // Clipping f32 value if exceeds the limit
v_cndmask_b32 v12, v12, v[vgprValuC+34], s[54:55]  // 
v_cmp_class_f32 s[54:55], v[vgprValuC+35], v16     // check NaN and +/-INF
v_med3_f32 v13, v[vgprValuC+35], v14, v15          // Clipping f32 value if exceeds the limit
v_cndmask_b32 v13, v13, v[vgprValuC+35], s[54:55]  // 
v_cvt_pk_fp8_f32  v32, v12, v13 op_sel:[0,0,1]     // convert two f32 accumulated values to fp8 and save it to hi_16[16:31]
_ds_store_b32 v7, v32, offset:24                   // storeRemap lw
v_cmp_class_f32 s[54:55], v[vgprValuC+36], v16     // check NaN and +/-INF
v_med3_f32 v12, v[vgprValuC+36], v14, v15          // Clipping f32 value if exceeds the limit
v_cndmask_b32 v12, v12, v[vgprValuC+36], s[54:55]  // 
v_cmp_class_f32 s[54:55], v[vgprValuC+37], v16     // check NaN and +/-INF
v_med3_f32 v13, v[vgprValuC+37], v14, v15          // Clipping f32 value if exceeds the limit
v_cndmask_b32 v13, v13, v[vgprValuC+37], s[54:55]  // 
v_cvt_pk_fp8_f32  v36, v12, v13 op_sel:[0,0,0]     // convert two f32 accumulated values to fp8 and save it to lo_16[0:15]
v_cmp_class_f32 s[54:55], v[vgprValuC+38], v16     // check NaN and +/-INF
v_med3_f32 v12, v[vgprValuC+38], v14, v15          // Clipping f32 value if exceeds the limit
v_cndmask_b32 v12, v12, v[vgprValuC+38], s[54:55]  // 
v_cmp_class_f32 s[54:55], v[vgprValuC+39], v16     // check NaN and +/-INF
v_med3_f32 v13, v[vgprValuC+39], v14, v15          // Clipping f32 value if exceeds the limit
v_cndmask_b32 v13, v13, v[vgprValuC+39], s[54:55]  // 
v_cvt_pk_fp8_f32  v36, v12, v13 op_sel:[0,0,1]     // convert two f32 accumulated values to fp8 and save it to hi_16[16:31]
_ds_store_b32 v7, v36, offset:128                  // storeRemap lw
v_cmp_class_f32 s[54:55], v[vgprValuC+40], v16     // check NaN and +/-INF
v_med3_f32 v12, v[vgprValuC+40], v14, v15          // Clipping f32 value if exceeds the limit
v_cndmask_b32 v12, v12, v[vgprValuC+40], s[54:55]  // 
v_cmp_class_f32 s[54:55], v[vgprValuC+41], v16     // check NaN and +/-INF
v_med3_f32 v13, v[vgprValuC+41], v14, v15          // Clipping f32 value if exceeds the limit
v_cndmask_b32 v13, v13, v[vgprValuC+41], s[54:55]  // 
v_cvt_pk_fp8_f32  v40, v12, v13 op_sel:[0,0,0]     // convert two f32 accumulated values to fp8 and save it to lo_16[0:15]
v_cmp_class_f32 s[54:55], v[vgprValuC+42], v16     // check NaN and +/-INF
v_med3_f32 v12, v[vgprValuC+42], v14, v15          // Clipping f32 value if exceeds the limit
v_cndmask_b32 v12, v12, v[vgprValuC+42], s[54:55]  // 
v_cmp_class_f32 s[54:55], v[vgprValuC+43], v16     // check NaN and +/-INF
v_med3_f32 v13, v[vgprValuC+43], v14, v15          // Clipping f32 value if exceeds the limit
v_cndmask_b32 v13, v13, v[vgprValuC+43], s[54:55]  // 
v_cvt_pk_fp8_f32  v40, v12, v13 op_sel:[0,0,1]     // convert two f32 accumulated values to fp8 and save it to hi_16[16:31]
_ds_store_b32 v7, v40, offset:136                  // storeRemap lw
	;; [unrolled: 15-line block ×4, first 2 shown]

/* Handle local read and global write */
s_waitcnt lgkmcnt(0)                               // wait for LDS write
s_barrier //wait all lds write finished

_ds_load_b128 v[20:23], v8, offset:0               // storeRemap lr
_ds_load_b128 v[24:27], v8, offset:1088            // storeRemap lr

v_mov_b32 v18, v6                                  // coord1
v_mul_lo_u32 v18, v18, s[sgprStrideD1J]            // coord1 offset =  coord1 * StrideD
_v_add_lshl_u32 v18, v18, v4, 0x0                  // global write D address
s_waitcnt lgkmcnt(1)                               // wait for LDS read
_buffer_store_b128 v[20:23], v18, s[sgprSrdD:sgprSrdD+3], 0, offen, offset:0 // store D
_v_add_u32 v18, v6, 4                              // coord1 += nColPerLoad
v_mul_lo_u32 v18, v18, s[sgprStrideD1J]            // coord1 offset =  coord1 * StrideD
_v_add_lshl_u32 v18, v18, v4, 0x0                  // global write D address
s_waitcnt lgkmcnt(0)                               // wait for LDS read
_buffer_store_b128 v[24:27], v18, s[sgprSrdD:sgprSrdD+3], 0, offen, offset:0 // store D

s_barrier //wait all lds read finished
s_nop 0                                            // 1 wait state required when next inst writes vgprs held by previous dwordx4 store inst
s_branch label_GW_End_124                          // jump to end
GW_B0_E1_116:

/* edge=0, allocate 6 sgpr. perBatchTmpS=4 perBatchMaskS=2 perElementMaskS=0 elementsPerBatch=8 */
/* optSingleColVgpr=0 optSharedColVgpr=0 optSGPRUsage=BufferLoad_Edge_Mask optSrdIncForRow=1 */

/******************************************/
/* Global Write Alpha Edge Batch #0 (d1,d0,vc1,vc0) = */
/*    (0,0,0,0:vw4); (0,1,0,0:vw4); (0,2,0,0:vw4); (0,3,0,0:vw4); (0,4,0,0:vw4); (0,5,0,0:vw4); (0,6,0,0:vw4); (0,7,0,0:vw4) */
/******************************************/

/* calc coords, apply mask, and issue loads (if necessary) */
/* (d1,vc1,d0,vc0)=(0,0,0,0) */
_v_add_lshl_u32 v9, v3, v0, 0x0                    // scaleToBpe: accumulate d0 lower and *= bpe into Cin addr
/* (d1,vc1,d0,vc0)=(0,0,1,0) */
_v_add_co_u32 v10, vcc, v0, 8                      // coord0.1: coord0 += d0*sg0*VW + vc0
_v_add_lshl_u32 v17, v3, v10, 0x0                  // scaleToBpe: accumulate d0 lower and *= bpe into Cin addr
/* (d1,vc1,d0,vc0)=(0,0,2,0) */
_v_add_co_u32 v10, vcc, v0, 16                     // coord0.1: coord0 += d0*sg0*VW + vc0
_v_add_lshl_u32 v18, v3, v10, 0x0                  // scaleToBpe: accumulate d0 lower and *= bpe into Cin addr
/* (d1,vc1,d0,vc0)=(0,0,3,0) */
_v_add_co_u32 v10, vcc, v0, 24                     // coord0.1: coord0 += d0*sg0*VW + vc0
_v_add_lshl_u32 v19, v3, v10, 0x0                  // scaleToBpe: accumulate d0 lower and *= bpe into Cin addr
/* (d1,vc1,d0,vc0)=(0,0,4,0) */
s_mov_b32 s54, 128                                 // coordOffset0 d0=4 vc0=0
_v_add_co_u32 v10, vcc, v0, s54                    // coord0.2: coord0 += d0*sg0*VW + vc0
_v_add_lshl_u32 v36, v3, v10, 0x0                  // scaleToBpe: accumulate d0 lower and *= bpe into Cin addr
/* (d1,vc1,d0,vc0)=(0,0,5,0) */
s_mov_b32 s54, 136                                 // coordOffset0 d0=5 vc0=0
_v_add_co_u32 v10, vcc, v0, s54                    // coord0.2: coord0 += d0*sg0*VW + vc0
_v_add_lshl_u32 v37, v3, v10, 0x0                  // scaleToBpe: accumulate d0 lower and *= bpe into Cin addr
/* (d1,vc1,d0,vc0)=(0,0,6,0) */
s_mov_b32 s54, 144                                 // coordOffset0 d0=6 vc0=0
_v_add_co_u32 v10, vcc, v0, s54                    // coord0.2: coord0 += d0*sg0*VW + vc0
_v_add_lshl_u32 v38, v3, v10, 0x0                  // scaleToBpe: accumulate d0 lower and *= bpe into Cin addr
/* (d1,vc1,d0,vc0)=(0,0,7,0) */
s_mov_b32 s54, 152                                 // coordOffset0 d0=7 vc0=0
_v_add_co_u32 v10, vcc, v0, s54                    // coord0.2: coord0 += d0*sg0*VW + vc0
_v_add_lshl_u32 v39, v3, v10, 0x0                  // scaleToBpe: accumulate d0 lower and *= bpe into Cin addr
v_accvgpr_read_b32 v[vgprValuC+20], acc0 // copy acc to vreg[0]
v_accvgpr_read_b32 v[vgprValuC+21], acc1 // copy acc to vreg[1]
v_accvgpr_read_b32 v[vgprValuC+22], acc2 // copy acc to vreg[2]
v_accvgpr_read_b32 v[vgprValuC+23], acc3 // copy acc to vreg[3]
v_accvgpr_read_b32 v[vgprValuC+24], acc4 // copy acc to vreg[4]
v_accvgpr_read_b32 v[vgprValuC+25], acc5 // copy acc to vreg[5]
v_accvgpr_read_b32 v[vgprValuC+26], acc6 // copy acc to vreg[6]
v_accvgpr_read_b32 v[vgprValuC+27], acc7 // copy acc to vreg[7]
v_accvgpr_read_b32 v[vgprValuC+28], acc8 // copy acc to vreg[8]
v_accvgpr_read_b32 v[vgprValuC+29], acc9 // copy acc to vreg[9]
v_accvgpr_read_b32 v[vgprValuC+30], acc10 // copy acc to vreg[10]
v_accvgpr_read_b32 v[vgprValuC+31], acc11 // copy acc to vreg[11]
v_accvgpr_read_b32 v[vgprValuC+32], acc12 // copy acc to vreg[12]
v_accvgpr_read_b32 v[vgprValuC+33], acc13 // copy acc to vreg[13]
v_accvgpr_read_b32 v[vgprValuC+34], acc14 // copy acc to vreg[14]
v_accvgpr_read_b32 v[vgprValuC+35], acc15 // copy acc to vreg[15]
v_accvgpr_read_b32 v[vgprValuC+40], acc16 // copy acc to vreg[16]
v_accvgpr_read_b32 v[vgprValuC+41], acc17 // copy acc to vreg[17]
v_accvgpr_read_b32 v[vgprValuC+42], acc18 // copy acc to vreg[18]
v_accvgpr_read_b32 v[vgprValuC+43], acc19 // copy acc to vreg[19]
v_accvgpr_read_b32 v[vgprValuC+44], acc20 // copy acc to vreg[20]
v_accvgpr_read_b32 v[vgprValuC+45], acc21 // copy acc to vreg[21]
v_accvgpr_read_b32 v[vgprValuC+46], acc22 // copy acc to vreg[22]
v_accvgpr_read_b32 v[vgprValuC+47], acc23 // copy acc to vreg[23]
v_accvgpr_read_b32 v[vgprValuC+48], acc24 // copy acc to vreg[24]
v_accvgpr_read_b32 v[vgprValuC+49], acc25 // copy acc to vreg[25]
v_accvgpr_read_b32 v[vgprValuC+50], acc26 // copy acc to vreg[26]
v_accvgpr_read_b32 v[vgprValuC+51], acc27 // copy acc to vreg[27]
v_accvgpr_read_b32 v[vgprValuC+52], acc28 // copy acc to vreg[28]
v_accvgpr_read_b32 v[vgprValuC+53], acc29 // copy acc to vreg[29]
v_accvgpr_read_b32 v[vgprValuC+54], acc30 // copy acc to vreg[30]
v_accvgpr_read_b32 v[vgprValuC+55], acc31 // copy acc to vreg[31]
s_nop 1                                            // 2 wait states required before reading vgpr

/* rC *= alpha batchElements=[(0, 0, 0, 0), (0, 1, 0, 0), (0, 2, 0, 0), (0, 3, 0, 0), (0, 4, 0, 0), (0, 5, 0, 0), (0, 6, 0, 0), (0, 7, 0, 0)] */
v_mul_f32 v[vgprValuC+20], s[sgprAlpha], v[vgprValuC+20] // *= alpha
v_mul_f32 v[vgprValuC+21], s[sgprAlpha], v[vgprValuC+21] // *= alpha
	;; [unrolled: 1-line block ×32, first 2 shown]

/* apply mask, calc new C and issue writes */
v_mov_b32 v16, 0x207                               // flag for Nan and +/- inf
v_mov_b32 v14, 0x43700000                          // save 240.0f as max for clipping
v_mov_b32 v15, 0xC3700000                          // save -240.0f as min for clipping
v_cmp_class_f32 s[54:55], v[vgprValuC+20], v16     // check NaN and +/-INF
v_med3_f32 v12, v[vgprValuC+20], v14, v15          // Clipping f32 value if exceeds the limit
v_cndmask_b32 v12, v12, v[vgprValuC+20], s[54:55]  // 
v_cmp_class_f32 s[54:55], v[vgprValuC+21], v16     // check NaN and +/-INF
v_med3_f32 v13, v[vgprValuC+21], v14, v15          // Clipping f32 value if exceeds the limit
v_cndmask_b32 v13, v13, v[vgprValuC+21], s[54:55]  // 
v_cvt_pk_fp8_f32  v20, v12, v13 op_sel:[0,0,0]     // convert two f32 accumulated values to fp8 and save it to lo_16[0:15]
v_cmp_class_f32 s[54:55], v[vgprValuC+22], v16     // check NaN and +/-INF
v_med3_f32 v12, v[vgprValuC+22], v14, v15          // Clipping f32 value if exceeds the limit
v_cndmask_b32 v12, v12, v[vgprValuC+22], s[54:55]  // 
v_cmp_class_f32 s[54:55], v[vgprValuC+23], v16     // check NaN and +/-INF
v_med3_f32 v13, v[vgprValuC+23], v14, v15          // Clipping f32 value if exceeds the limit
v_cndmask_b32 v13, v13, v[vgprValuC+23], s[54:55]  // 
v_cvt_pk_fp8_f32  v20, v12, v13 op_sel:[0,0,1]     // convert two f32 accumulated values to fp8 and save it to hi_16[16:31]
_ds_store_b32 v7, v20, offset:0                    // storeRemap lw
v_cmp_class_f32 s[54:55], v[vgprValuC+24], v16     // check NaN and +/-INF
v_med3_f32 v12, v[vgprValuC+24], v14, v15          // Clipping f32 value if exceeds the limit
v_cndmask_b32 v12, v12, v[vgprValuC+24], s[54:55]  // 
v_cmp_class_f32 s[54:55], v[vgprValuC+25], v16     // check NaN and +/-INF
v_med3_f32 v13, v[vgprValuC+25], v14, v15          // Clipping f32 value if exceeds the limit
v_cndmask_b32 v13, v13, v[vgprValuC+25], s[54:55]  // 
v_cvt_pk_fp8_f32  v24, v12, v13 op_sel:[0,0,0]     // convert two f32 accumulated values to fp8 and save it to lo_16[0:15]
v_cmp_class_f32 s[54:55], v[vgprValuC+26], v16     // check NaN and +/-INF
v_med3_f32 v12, v[vgprValuC+26], v14, v15          // Clipping f32 value if exceeds the limit
v_cndmask_b32 v12, v12, v[vgprValuC+26], s[54:55]  // 
v_cmp_class_f32 s[54:55], v[vgprValuC+27], v16     // check NaN and +/-INF
v_med3_f32 v13, v[vgprValuC+27], v14, v15          // Clipping f32 value if exceeds the limit
v_cndmask_b32 v13, v13, v[vgprValuC+27], s[54:55]  // 
v_cvt_pk_fp8_f32  v24, v12, v13 op_sel:[0,0,1]     // convert two f32 accumulated values to fp8 and save it to hi_16[16:31]
_ds_store_b32 v7, v24, offset:8                    // storeRemap lw
v_cmp_class_f32 s[54:55], v[vgprValuC+28], v16     // check NaN and +/-INF
v_med3_f32 v12, v[vgprValuC+28], v14, v15          // Clipping f32 value if exceeds the limit
v_cndmask_b32 v12, v12, v[vgprValuC+28], s[54:55]  // 
v_cmp_class_f32 s[54:55], v[vgprValuC+29], v16     // check NaN and +/-INF
v_med3_f32 v13, v[vgprValuC+29], v14, v15          // Clipping f32 value if exceeds the limit
v_cndmask_b32 v13, v13, v[vgprValuC+29], s[54:55]  // 
v_cvt_pk_fp8_f32  v28, v12, v13 op_sel:[0,0,0]     // convert two f32 accumulated values to fp8 and save it to lo_16[0:15]
v_cmp_class_f32 s[54:55], v[vgprValuC+30], v16     // check NaN and +/-INF
v_med3_f32 v12, v[vgprValuC+30], v14, v15          // Clipping f32 value if exceeds the limit
v_cndmask_b32 v12, v12, v[vgprValuC+30], s[54:55]  // 
v_cmp_class_f32 s[54:55], v[vgprValuC+31], v16     // check NaN and +/-INF
v_med3_f32 v13, v[vgprValuC+31], v14, v15          // Clipping f32 value if exceeds the limit
v_cndmask_b32 v13, v13, v[vgprValuC+31], s[54:55]  // 
v_cvt_pk_fp8_f32  v28, v12, v13 op_sel:[0,0,1]     // convert two f32 accumulated values to fp8 and save it to hi_16[16:31]
_ds_store_b32 v7, v28, offset:16                   // storeRemap lw
v_cmp_class_f32 s[54:55], v[vgprValuC+32], v16     // check NaN and +/-INF
v_med3_f32 v12, v[vgprValuC+32], v14, v15          // Clipping f32 value if exceeds the limit
v_cndmask_b32 v12, v12, v[vgprValuC+32], s[54:55]  // 
v_cmp_class_f32 s[54:55], v[vgprValuC+33], v16     // check NaN and +/-INF
v_med3_f32 v13, v[vgprValuC+33], v14, v15          // Clipping f32 value if exceeds the limit
v_cndmask_b32 v13, v13, v[vgprValuC+33], s[54:55]  // 
v_cvt_pk_fp8_f32  v32, v12, v13 op_sel:[0,0,0]     // convert two f32 accumulated values to fp8 and save it to lo_16[0:15]
v_cmp_class_f32 s[54:55], v[vgprValuC+34], v16     // check NaN and +/-INF
v_med3_f32 v12, v[vgprValuC+34], v14, v15          // Clipping f32 value if exceeds the limit
v_cndmask_b32 v12, v12, v[vgprValuC+34], s[54:55]  // 
v_cmp_class_f32 s[54:55], v[vgprValuC+35], v16     // check NaN and +/-INF
v_med3_f32 v13, v[vgprValuC+35], v14, v15          // Clipping f32 value if exceeds the limit
v_cndmask_b32 v13, v13, v[vgprValuC+35], s[54:55]  // 
v_cvt_pk_fp8_f32  v32, v12, v13 op_sel:[0,0,1]     // convert two f32 accumulated values to fp8 and save it to hi_16[16:31]
_ds_store_b32 v7, v32, offset:24                   // storeRemap lw
v_cmp_class_f32 s[54:55], v[vgprValuC+40], v16     // check NaN and +/-INF
v_med3_f32 v12, v[vgprValuC+40], v14, v15          // Clipping f32 value if exceeds the limit
v_cndmask_b32 v12, v12, v[vgprValuC+40], s[54:55]  // 
v_cmp_class_f32 s[54:55], v[vgprValuC+41], v16     // check NaN and +/-INF
v_med3_f32 v13, v[vgprValuC+41], v14, v15          // Clipping f32 value if exceeds the limit
v_cndmask_b32 v13, v13, v[vgprValuC+41], s[54:55]  // 
v_cvt_pk_fp8_f32  v40, v12, v13 op_sel:[0,0,0]     // convert two f32 accumulated values to fp8 and save it to lo_16[0:15]
v_cmp_class_f32 s[54:55], v[vgprValuC+42], v16     // check NaN and +/-INF
v_med3_f32 v12, v[vgprValuC+42], v14, v15          // Clipping f32 value if exceeds the limit
v_cndmask_b32 v12, v12, v[vgprValuC+42], s[54:55]  // 
v_cmp_class_f32 s[54:55], v[vgprValuC+43], v16     // check NaN and +/-INF
v_med3_f32 v13, v[vgprValuC+43], v14, v15          // Clipping f32 value if exceeds the limit
v_cndmask_b32 v13, v13, v[vgprValuC+43], s[54:55]  // 
v_cvt_pk_fp8_f32  v40, v12, v13 op_sel:[0,0,1]     // convert two f32 accumulated values to fp8 and save it to hi_16[16:31]
_ds_store_b32 v7, v40, offset:128                  // storeRemap lw
v_cmp_class_f32 s[54:55], v[vgprValuC+44], v16     // check NaN and +/-INF
v_med3_f32 v12, v[vgprValuC+44], v14, v15          // Clipping f32 value if exceeds the limit
v_cndmask_b32 v12, v12, v[vgprValuC+44], s[54:55]  // 
v_cmp_class_f32 s[54:55], v[vgprValuC+45], v16     // check NaN and +/-INF
v_med3_f32 v13, v[vgprValuC+45], v14, v15          // Clipping f32 value if exceeds the limit
v_cndmask_b32 v13, v13, v[vgprValuC+45], s[54:55]  // 
v_cvt_pk_fp8_f32  v44, v12, v13 op_sel:[0,0,0]     // convert two f32 accumulated values to fp8 and save it to lo_16[0:15]
v_cmp_class_f32 s[54:55], v[vgprValuC+46], v16     // check NaN and +/-INF
v_med3_f32 v12, v[vgprValuC+46], v14, v15          // Clipping f32 value if exceeds the limit
v_cndmask_b32 v12, v12, v[vgprValuC+46], s[54:55]  // 
v_cmp_class_f32 s[54:55], v[vgprValuC+47], v16     // check NaN and +/-INF
v_med3_f32 v13, v[vgprValuC+47], v14, v15          // Clipping f32 value if exceeds the limit
v_cndmask_b32 v13, v13, v[vgprValuC+47], s[54:55]  // 
v_cvt_pk_fp8_f32  v44, v12, v13 op_sel:[0,0,1]     // convert two f32 accumulated values to fp8 and save it to hi_16[16:31]
_ds_store_b32 v7, v44, offset:136                  // storeRemap lw
v_cmp_class_f32 s[54:55], v[vgprValuC+48], v16     // check NaN and +/-INF
v_med3_f32 v12, v[vgprValuC+48], v14, v15          // Clipping f32 value if exceeds the limit
v_cndmask_b32 v12, v12, v[vgprValuC+48], s[54:55]  // 
v_cmp_class_f32 s[54:55], v[vgprValuC+49], v16     // check NaN and +/-INF
v_med3_f32 v13, v[vgprValuC+49], v14, v15          // Clipping f32 value if exceeds the limit
v_cndmask_b32 v13, v13, v[vgprValuC+49], s[54:55]  // 
v_cvt_pk_fp8_f32  v48, v12, v13 op_sel:[0,0,0]     // convert two f32 accumulated values to fp8 and save it to lo_16[0:15]
v_cmp_class_f32 s[54:55], v[vgprValuC+50], v16     // check NaN and +/-INF
v_med3_f32 v12, v[vgprValuC+50], v14, v15          // Clipping f32 value if exceeds the limit
v_cndmask_b32 v12, v12, v[vgprValuC+50], s[54:55]  // 
v_cmp_class_f32 s[54:55], v[vgprValuC+51], v16     // check NaN and +/-INF
v_med3_f32 v13, v[vgprValuC+51], v14, v15          // Clipping f32 value if exceeds the limit
v_cndmask_b32 v13, v13, v[vgprValuC+51], s[54:55]  // 
v_cvt_pk_fp8_f32  v48, v12, v13 op_sel:[0,0,1]     // convert two f32 accumulated values to fp8 and save it to hi_16[16:31]
_ds_store_b32 v7, v48, offset:144                  // storeRemap lw
v_cmp_class_f32 s[54:55], v[vgprValuC+52], v16     // check NaN and +/-INF
v_med3_f32 v12, v[vgprValuC+52], v14, v15          // Clipping f32 value if exceeds the limit
v_cndmask_b32 v12, v12, v[vgprValuC+52], s[54:55]  // 
v_cmp_class_f32 s[54:55], v[vgprValuC+53], v16     // check NaN and +/-INF
v_med3_f32 v13, v[vgprValuC+53], v14, v15          // Clipping f32 value if exceeds the limit
v_cndmask_b32 v13, v13, v[vgprValuC+53], s[54:55]  // 
v_cvt_pk_fp8_f32  v52, v12, v13 op_sel:[0,0,0]     // convert two f32 accumulated values to fp8 and save it to lo_16[0:15]
v_cmp_class_f32 s[54:55], v[vgprValuC+54], v16     // check NaN and +/-INF
v_med3_f32 v12, v[vgprValuC+54], v14, v15          // Clipping f32 value if exceeds the limit
v_cndmask_b32 v12, v12, v[vgprValuC+54], s[54:55]  // 
v_cmp_class_f32 s[54:55], v[vgprValuC+55], v16     // check NaN and +/-INF
v_med3_f32 v13, v[vgprValuC+55], v14, v15          // Clipping f32 value if exceeds the limit
v_cndmask_b32 v13, v13, v[vgprValuC+55], s[54:55]  // 
v_cvt_pk_fp8_f32  v52, v12, v13 op_sel:[0,0,1]     // convert two f32 accumulated values to fp8 and save it to hi_16[16:31]
_ds_store_b32 v7, v52, offset:152                  // storeRemap lw

/* Handle local read and global write */
s_waitcnt lgkmcnt(0)                               // wait for LDS write
s_barrier //wait all lds write finished

_ds_load_b128 v[20:23], v8, offset:0               // storeRemap lr
_ds_load_b128 v[24:27], v8, offset:1088            // storeRemap lr

s_waitcnt lgkmcnt(1)                               // wait for LDS read
_v_add_u32 v11, v5, 0                              // coord1 += nColPerLoad
_v_add_u32 v10, v4, 0                              // coord0 += element index of load vector
_v_add_u32 v9, v6, 0                               // offset coord1 += nColPerLoad
v_cmp_lt_u32 s[54:55], v10, s[sgprSizeI]           // coord0 < size0
v_cmp_lt_u32 s[56:57], v11, s[sgprSizeJ]           // coord1 < size1
s_and_b64 s[56:57], s[54:55], s[56:57]             // in0 && in1
v_mul_lo_u32 v9, v9, s[sgprStrideD1J]              // coord1 element offset =  coord1 * StrideD
_v_add_lshl_u32 v9, v9, v10, 0x0                   // scale to BPE
v_cndmask_b32 v9, -1, v9, s[56:57]                 // clip if OOB. offset
buffer_store_byte v20, v9, s[sgprSrdD:sgprSrdD+3], 0, offen, offset:0 // store D
_v_add_u32 v11, v5, 0                              // coord1 += nColPerLoad
_v_add_u32 v10, v4, 1                              // coord0 += element index of load vector
_v_add_u32 v9, v6, 0                               // offset coord1 += nColPerLoad
v_cmp_lt_u32 s[54:55], v10, s[sgprSizeI]           // coord0 < size0
v_cmp_lt_u32 s[56:57], v11, s[sgprSizeJ]           // coord1 < size1
s_and_b64 s[56:57], s[54:55], s[56:57]             // in0 && in1
v_mul_lo_u32 v9, v9, s[sgprStrideD1J]              // coord1 element offset =  coord1 * StrideD
_v_add_lshl_u32 v9, v9, v10, 0x0                   // scale to BPE
v_cndmask_b32 v9, -1, v9, s[56:57]                 // clip if OOB. offset
v_lshrrev_b32 v17, 8, v20                          // vGWTmp = src >> 8
buffer_store_byte v17, v9, s[sgprSrdD:sgprSrdD+3], 0, offen, offset:0 // store D
_v_add_u32 v11, v5, 0                              // coord1 += nColPerLoad
_v_add_u32 v10, v4, 2                              // coord0 += element index of load vector
_v_add_u32 v9, v6, 0                               // offset coord1 += nColPerLoad
v_cmp_lt_u32 s[54:55], v10, s[sgprSizeI]           // coord0 < size0
v_cmp_lt_u32 s[56:57], v11, s[sgprSizeJ]           // coord1 < size1
s_and_b64 s[56:57], s[54:55], s[56:57]             // in0 && in1
v_mul_lo_u32 v9, v9, s[sgprStrideD1J]              // coord1 element offset =  coord1 * StrideD
_v_add_lshl_u32 v9, v9, v10, 0x0                   // scale to BPE
v_cndmask_b32 v9, -1, v9, s[56:57]                 // clip if OOB. offset
buffer_store_byte_d16_hi v20, v9, s[sgprSrdD:sgprSrdD+3], 0, offen, offset:0 // store D
_v_add_u32 v11, v5, 0                              // coord1 += nColPerLoad
_v_add_u32 v10, v4, 3                              // coord0 += element index of load vector
_v_add_u32 v9, v6, 0                               // offset coord1 += nColPerLoad
v_cmp_lt_u32 s[54:55], v10, s[sgprSizeI]           // coord0 < size0
v_cmp_lt_u32 s[56:57], v11, s[sgprSizeJ]           // coord1 < size1
s_and_b64 s[56:57], s[54:55], s[56:57]             // in0 && in1
v_mul_lo_u32 v9, v9, s[sgprStrideD1J]              // coord1 element offset =  coord1 * StrideD
_v_add_lshl_u32 v9, v9, v10, 0x0                   // scale to BPE
v_cndmask_b32 v9, -1, v9, s[56:57]                 // clip if OOB. offset
v_lshrrev_b32 v17, 8, v20                          // vGWTmp = src >> 8
buffer_store_byte_d16_hi v17, v9, s[sgprSrdD:sgprSrdD+3], 0, offen, offset:0 // store D
_v_add_u32 v11, v5, 0                              // coord1 += nColPerLoad
_v_add_u32 v10, v4, 4                              // coord0 += element index of load vector
_v_add_u32 v9, v6, 0                               // offset coord1 += nColPerLoad
v_cmp_lt_u32 s[54:55], v10, s[sgprSizeI]           // coord0 < size0
v_cmp_lt_u32 s[56:57], v11, s[sgprSizeJ]           // coord1 < size1
s_and_b64 s[56:57], s[54:55], s[56:57]             // in0 && in1
v_mul_lo_u32 v9, v9, s[sgprStrideD1J]              // coord1 element offset =  coord1 * StrideD
_v_add_lshl_u32 v9, v9, v10, 0x0                   // scale to BPE
v_cndmask_b32 v9, -1, v9, s[56:57]                 // clip if OOB. offset
buffer_store_byte v21, v9, s[sgprSrdD:sgprSrdD+3], 0, offen, offset:0 // store D
_v_add_u32 v11, v5, 0                              // coord1 += nColPerLoad
_v_add_u32 v10, v4, 5                              // coord0 += element index of load vector
_v_add_u32 v9, v6, 0                               // offset coord1 += nColPerLoad
v_cmp_lt_u32 s[54:55], v10, s[sgprSizeI]           // coord0 < size0
v_cmp_lt_u32 s[56:57], v11, s[sgprSizeJ]           // coord1 < size1
s_and_b64 s[56:57], s[54:55], s[56:57]             // in0 && in1
v_mul_lo_u32 v9, v9, s[sgprStrideD1J]              // coord1 element offset =  coord1 * StrideD
_v_add_lshl_u32 v9, v9, v10, 0x0                   // scale to BPE
v_cndmask_b32 v9, -1, v9, s[56:57]                 // clip if OOB. offset
v_lshrrev_b32 v17, 8, v21                          // vGWTmp = src >> 8
buffer_store_byte v17, v9, s[sgprSrdD:sgprSrdD+3], 0, offen, offset:0 // store D
_v_add_u32 v11, v5, 0                              // coord1 += nColPerLoad
_v_add_u32 v10, v4, 6                              // coord0 += element index of load vector
_v_add_u32 v9, v6, 0                               // offset coord1 += nColPerLoad
v_cmp_lt_u32 s[54:55], v10, s[sgprSizeI]           // coord0 < size0
v_cmp_lt_u32 s[56:57], v11, s[sgprSizeJ]           // coord1 < size1
s_and_b64 s[56:57], s[54:55], s[56:57]             // in0 && in1
v_mul_lo_u32 v9, v9, s[sgprStrideD1J]              // coord1 element offset =  coord1 * StrideD
_v_add_lshl_u32 v9, v9, v10, 0x0                   // scale to BPE
v_cndmask_b32 v9, -1, v9, s[56:57]                 // clip if OOB. offset
buffer_store_byte_d16_hi v21, v9, s[sgprSrdD:sgprSrdD+3], 0, offen, offset:0 // store D
_v_add_u32 v11, v5, 0                              // coord1 += nColPerLoad
_v_add_u32 v10, v4, 7                              // coord0 += element index of load vector
_v_add_u32 v9, v6, 0                               // offset coord1 += nColPerLoad
v_cmp_lt_u32 s[54:55], v10, s[sgprSizeI]           // coord0 < size0
v_cmp_lt_u32 s[56:57], v11, s[sgprSizeJ]           // coord1 < size1
s_and_b64 s[56:57], s[54:55], s[56:57]             // in0 && in1
v_mul_lo_u32 v9, v9, s[sgprStrideD1J]              // coord1 element offset =  coord1 * StrideD
_v_add_lshl_u32 v9, v9, v10, 0x0                   // scale to BPE
v_cndmask_b32 v9, -1, v9, s[56:57]                 // clip if OOB. offset
v_lshrrev_b32 v17, 8, v21                          // vGWTmp = src >> 8
buffer_store_byte_d16_hi v17, v9, s[sgprSrdD:sgprSrdD+3], 0, offen, offset:0 // store D
_v_add_u32 v11, v5, 0                              // coord1 += nColPerLoad
_v_add_u32 v10, v4, 8                              // coord0 += element index of load vector
_v_add_u32 v9, v6, 0                               // offset coord1 += nColPerLoad
v_cmp_lt_u32 s[54:55], v10, s[sgprSizeI]           // coord0 < size0
v_cmp_lt_u32 s[56:57], v11, s[sgprSizeJ]           // coord1 < size1
s_and_b64 s[56:57], s[54:55], s[56:57]             // in0 && in1
v_mul_lo_u32 v9, v9, s[sgprStrideD1J]              // coord1 element offset =  coord1 * StrideD
_v_add_lshl_u32 v9, v9, v10, 0x0                   // scale to BPE
v_cndmask_b32 v9, -1, v9, s[56:57]                 // clip if OOB. offset
buffer_store_byte v22, v9, s[sgprSrdD:sgprSrdD+3], 0, offen, offset:0 // store D
_v_add_u32 v11, v5, 0                              // coord1 += nColPerLoad
_v_add_u32 v10, v4, 9                              // coord0 += element index of load vector
_v_add_u32 v9, v6, 0                               // offset coord1 += nColPerLoad
v_cmp_lt_u32 s[54:55], v10, s[sgprSizeI]           // coord0 < size0
v_cmp_lt_u32 s[56:57], v11, s[sgprSizeJ]           // coord1 < size1
s_and_b64 s[56:57], s[54:55], s[56:57]             // in0 && in1
v_mul_lo_u32 v9, v9, s[sgprStrideD1J]              // coord1 element offset =  coord1 * StrideD
_v_add_lshl_u32 v9, v9, v10, 0x0                   // scale to BPE
v_cndmask_b32 v9, -1, v9, s[56:57]                 // clip if OOB. offset
v_lshrrev_b32 v17, 8, v22                          // vGWTmp = src >> 8
buffer_store_byte v17, v9, s[sgprSrdD:sgprSrdD+3], 0, offen, offset:0 // store D
_v_add_u32 v11, v5, 0                              // coord1 += nColPerLoad
_v_add_u32 v10, v4, 10                             // coord0 += element index of load vector
_v_add_u32 v9, v6, 0                               // offset coord1 += nColPerLoad
v_cmp_lt_u32 s[54:55], v10, s[sgprSizeI]           // coord0 < size0
v_cmp_lt_u32 s[56:57], v11, s[sgprSizeJ]           // coord1 < size1
s_and_b64 s[56:57], s[54:55], s[56:57]             // in0 && in1
v_mul_lo_u32 v9, v9, s[sgprStrideD1J]              // coord1 element offset =  coord1 * StrideD
_v_add_lshl_u32 v9, v9, v10, 0x0                   // scale to BPE
v_cndmask_b32 v9, -1, v9, s[56:57]                 // clip if OOB. offset
buffer_store_byte_d16_hi v22, v9, s[sgprSrdD:sgprSrdD+3], 0, offen, offset:0 // store D
_v_add_u32 v11, v5, 0                              // coord1 += nColPerLoad
_v_add_u32 v10, v4, 11                             // coord0 += element index of load vector
_v_add_u32 v9, v6, 0                               // offset coord1 += nColPerLoad
v_cmp_lt_u32 s[54:55], v10, s[sgprSizeI]           // coord0 < size0
v_cmp_lt_u32 s[56:57], v11, s[sgprSizeJ]           // coord1 < size1
s_and_b64 s[56:57], s[54:55], s[56:57]             // in0 && in1
v_mul_lo_u32 v9, v9, s[sgprStrideD1J]              // coord1 element offset =  coord1 * StrideD
_v_add_lshl_u32 v9, v9, v10, 0x0                   // scale to BPE
v_cndmask_b32 v9, -1, v9, s[56:57]                 // clip if OOB. offset
v_lshrrev_b32 v17, 8, v22                          // vGWTmp = src >> 8
buffer_store_byte_d16_hi v17, v9, s[sgprSrdD:sgprSrdD+3], 0, offen, offset:0 // store D
_v_add_u32 v11, v5, 0                              // coord1 += nColPerLoad
_v_add_u32 v10, v4, 12                             // coord0 += element index of load vector
_v_add_u32 v9, v6, 0                               // offset coord1 += nColPerLoad
v_cmp_lt_u32 s[54:55], v10, s[sgprSizeI]           // coord0 < size0
v_cmp_lt_u32 s[56:57], v11, s[sgprSizeJ]           // coord1 < size1
s_and_b64 s[56:57], s[54:55], s[56:57]             // in0 && in1
v_mul_lo_u32 v9, v9, s[sgprStrideD1J]              // coord1 element offset =  coord1 * StrideD
_v_add_lshl_u32 v9, v9, v10, 0x0                   // scale to BPE
v_cndmask_b32 v9, -1, v9, s[56:57]                 // clip if OOB. offset
buffer_store_byte v23, v9, s[sgprSrdD:sgprSrdD+3], 0, offen, offset:0 // store D
_v_add_u32 v11, v5, 0                              // coord1 += nColPerLoad
_v_add_u32 v10, v4, 13                             // coord0 += element index of load vector
_v_add_u32 v9, v6, 0                               // offset coord1 += nColPerLoad
v_cmp_lt_u32 s[54:55], v10, s[sgprSizeI]           // coord0 < size0
v_cmp_lt_u32 s[56:57], v11, s[sgprSizeJ]           // coord1 < size1
s_and_b64 s[56:57], s[54:55], s[56:57]             // in0 && in1
v_mul_lo_u32 v9, v9, s[sgprStrideD1J]              // coord1 element offset =  coord1 * StrideD
_v_add_lshl_u32 v9, v9, v10, 0x0                   // scale to BPE
v_cndmask_b32 v9, -1, v9, s[56:57]                 // clip if OOB. offset
v_lshrrev_b32 v17, 8, v23                          // vGWTmp = src >> 8
buffer_store_byte v17, v9, s[sgprSrdD:sgprSrdD+3], 0, offen, offset:0 // store D
_v_add_u32 v11, v5, 0                              // coord1 += nColPerLoad
_v_add_u32 v10, v4, 14                             // coord0 += element index of load vector
_v_add_u32 v9, v6, 0                               // offset coord1 += nColPerLoad
v_cmp_lt_u32 s[54:55], v10, s[sgprSizeI]           // coord0 < size0
v_cmp_lt_u32 s[56:57], v11, s[sgprSizeJ]           // coord1 < size1
s_and_b64 s[56:57], s[54:55], s[56:57]             // in0 && in1
v_mul_lo_u32 v9, v9, s[sgprStrideD1J]              // coord1 element offset =  coord1 * StrideD
_v_add_lshl_u32 v9, v9, v10, 0x0                   // scale to BPE
v_cndmask_b32 v9, -1, v9, s[56:57]                 // clip if OOB. offset
buffer_store_byte_d16_hi v23, v9, s[sgprSrdD:sgprSrdD+3], 0, offen, offset:0 // store D
_v_add_u32 v11, v5, 0                              // coord1 += nColPerLoad
_v_add_u32 v10, v4, 15                             // coord0 += element index of load vector
_v_add_u32 v9, v6, 0                               // offset coord1 += nColPerLoad
v_cmp_lt_u32 s[54:55], v10, s[sgprSizeI]           // coord0 < size0
v_cmp_lt_u32 s[56:57], v11, s[sgprSizeJ]           // coord1 < size1
s_and_b64 s[56:57], s[54:55], s[56:57]             // in0 && in1
v_mul_lo_u32 v9, v9, s[sgprStrideD1J]              // coord1 element offset =  coord1 * StrideD
_v_add_lshl_u32 v9, v9, v10, 0x0                   // scale to BPE
v_cndmask_b32 v9, -1, v9, s[56:57]                 // clip if OOB. offset
v_lshrrev_b32 v17, 8, v23                          // vGWTmp = src >> 8
buffer_store_byte_d16_hi v17, v9, s[sgprSrdD:sgprSrdD+3], 0, offen, offset:0 // store D
s_waitcnt lgkmcnt(0)                               // wait for LDS read
_v_add_u32 v11, v5, 4                              // coord1 += nColPerLoad
_v_add_u32 v10, v4, 0                              // coord0 += element index of load vector
_v_add_u32 v9, v6, 4                               // offset coord1 += nColPerLoad
v_cmp_lt_u32 s[54:55], v10, s[sgprSizeI]           // coord0 < size0
v_cmp_lt_u32 s[56:57], v11, s[sgprSizeJ]           // coord1 < size1
s_and_b64 s[56:57], s[54:55], s[56:57]             // in0 && in1
v_mul_lo_u32 v9, v9, s[sgprStrideD1J]              // coord1 element offset =  coord1 * StrideD
_v_add_lshl_u32 v9, v9, v10, 0x0                   // scale to BPE
v_cndmask_b32 v9, -1, v9, s[56:57]                 // clip if OOB. offset
buffer_store_byte v24, v9, s[sgprSrdD:sgprSrdD+3], 0, offen, offset:0 // store D
_v_add_u32 v11, v5, 4                              // coord1 += nColPerLoad
_v_add_u32 v10, v4, 1                              // coord0 += element index of load vector
_v_add_u32 v9, v6, 4                               // offset coord1 += nColPerLoad
v_cmp_lt_u32 s[54:55], v10, s[sgprSizeI]           // coord0 < size0
v_cmp_lt_u32 s[56:57], v11, s[sgprSizeJ]           // coord1 < size1
s_and_b64 s[56:57], s[54:55], s[56:57]             // in0 && in1
v_mul_lo_u32 v9, v9, s[sgprStrideD1J]              // coord1 element offset =  coord1 * StrideD
_v_add_lshl_u32 v9, v9, v10, 0x0                   // scale to BPE
v_cndmask_b32 v9, -1, v9, s[56:57]                 // clip if OOB. offset
v_lshrrev_b32 v17, 8, v24                          // vGWTmp = src >> 8
buffer_store_byte v17, v9, s[sgprSrdD:sgprSrdD+3], 0, offen, offset:0 // store D
_v_add_u32 v11, v5, 4                              // coord1 += nColPerLoad
_v_add_u32 v10, v4, 2                              // coord0 += element index of load vector
_v_add_u32 v9, v6, 4                               // offset coord1 += nColPerLoad
v_cmp_lt_u32 s[54:55], v10, s[sgprSizeI]           // coord0 < size0
v_cmp_lt_u32 s[56:57], v11, s[sgprSizeJ]           // coord1 < size1
s_and_b64 s[56:57], s[54:55], s[56:57]             // in0 && in1
v_mul_lo_u32 v9, v9, s[sgprStrideD1J]              // coord1 element offset =  coord1 * StrideD
_v_add_lshl_u32 v9, v9, v10, 0x0                   // scale to BPE
v_cndmask_b32 v9, -1, v9, s[56:57]                 // clip if OOB. offset
buffer_store_byte_d16_hi v24, v9, s[sgprSrdD:sgprSrdD+3], 0, offen, offset:0 // store D
_v_add_u32 v11, v5, 4                              // coord1 += nColPerLoad
_v_add_u32 v10, v4, 3                              // coord0 += element index of load vector
_v_add_u32 v9, v6, 4                               // offset coord1 += nColPerLoad
v_cmp_lt_u32 s[54:55], v10, s[sgprSizeI]           // coord0 < size0
v_cmp_lt_u32 s[56:57], v11, s[sgprSizeJ]           // coord1 < size1
s_and_b64 s[56:57], s[54:55], s[56:57]             // in0 && in1
v_mul_lo_u32 v9, v9, s[sgprStrideD1J]              // coord1 element offset =  coord1 * StrideD
_v_add_lshl_u32 v9, v9, v10, 0x0                   // scale to BPE
v_cndmask_b32 v9, -1, v9, s[56:57]                 // clip if OOB. offset
v_lshrrev_b32 v17, 8, v24                          // vGWTmp = src >> 8
buffer_store_byte_d16_hi v17, v9, s[sgprSrdD:sgprSrdD+3], 0, offen, offset:0 // store D
_v_add_u32 v11, v5, 4                              // coord1 += nColPerLoad
_v_add_u32 v10, v4, 4                              // coord0 += element index of load vector
_v_add_u32 v9, v6, 4                               // offset coord1 += nColPerLoad
v_cmp_lt_u32 s[54:55], v10, s[sgprSizeI]           // coord0 < size0
v_cmp_lt_u32 s[56:57], v11, s[sgprSizeJ]           // coord1 < size1
s_and_b64 s[56:57], s[54:55], s[56:57]             // in0 && in1
v_mul_lo_u32 v9, v9, s[sgprStrideD1J]              // coord1 element offset =  coord1 * StrideD
_v_add_lshl_u32 v9, v9, v10, 0x0                   // scale to BPE
v_cndmask_b32 v9, -1, v9, s[56:57]                 // clip if OOB. offset
buffer_store_byte v25, v9, s[sgprSrdD:sgprSrdD+3], 0, offen, offset:0 // store D
_v_add_u32 v11, v5, 4                              // coord1 += nColPerLoad
_v_add_u32 v10, v4, 5                              // coord0 += element index of load vector
_v_add_u32 v9, v6, 4                               // offset coord1 += nColPerLoad
v_cmp_lt_u32 s[54:55], v10, s[sgprSizeI]           // coord0 < size0
v_cmp_lt_u32 s[56:57], v11, s[sgprSizeJ]           // coord1 < size1
s_and_b64 s[56:57], s[54:55], s[56:57]             // in0 && in1
v_mul_lo_u32 v9, v9, s[sgprStrideD1J]              // coord1 element offset =  coord1 * StrideD
_v_add_lshl_u32 v9, v9, v10, 0x0                   // scale to BPE
v_cndmask_b32 v9, -1, v9, s[56:57]                 // clip if OOB. offset
v_lshrrev_b32 v17, 8, v25                          // vGWTmp = src >> 8
buffer_store_byte v17, v9, s[sgprSrdD:sgprSrdD+3], 0, offen, offset:0 // store D
_v_add_u32 v11, v5, 4                              // coord1 += nColPerLoad
_v_add_u32 v10, v4, 6                              // coord0 += element index of load vector
_v_add_u32 v9, v6, 4                               // offset coord1 += nColPerLoad
v_cmp_lt_u32 s[54:55], v10, s[sgprSizeI]           // coord0 < size0
v_cmp_lt_u32 s[56:57], v11, s[sgprSizeJ]           // coord1 < size1
s_and_b64 s[56:57], s[54:55], s[56:57]             // in0 && in1
v_mul_lo_u32 v9, v9, s[sgprStrideD1J]              // coord1 element offset =  coord1 * StrideD
_v_add_lshl_u32 v9, v9, v10, 0x0                   // scale to BPE
v_cndmask_b32 v9, -1, v9, s[56:57]                 // clip if OOB. offset
buffer_store_byte_d16_hi v25, v9, s[sgprSrdD:sgprSrdD+3], 0, offen, offset:0 // store D
_v_add_u32 v11, v5, 4                              // coord1 += nColPerLoad
_v_add_u32 v10, v4, 7                              // coord0 += element index of load vector
_v_add_u32 v9, v6, 4                               // offset coord1 += nColPerLoad
v_cmp_lt_u32 s[54:55], v10, s[sgprSizeI]           // coord0 < size0
v_cmp_lt_u32 s[56:57], v11, s[sgprSizeJ]           // coord1 < size1
s_and_b64 s[56:57], s[54:55], s[56:57]             // in0 && in1
v_mul_lo_u32 v9, v9, s[sgprStrideD1J]              // coord1 element offset =  coord1 * StrideD
_v_add_lshl_u32 v9, v9, v10, 0x0                   // scale to BPE
v_cndmask_b32 v9, -1, v9, s[56:57]                 // clip if OOB. offset
v_lshrrev_b32 v17, 8, v25                          // vGWTmp = src >> 8
buffer_store_byte_d16_hi v17, v9, s[sgprSrdD:sgprSrdD+3], 0, offen, offset:0 // store D
_v_add_u32 v11, v5, 4                              // coord1 += nColPerLoad
_v_add_u32 v10, v4, 8                              // coord0 += element index of load vector
_v_add_u32 v9, v6, 4                               // offset coord1 += nColPerLoad
v_cmp_lt_u32 s[54:55], v10, s[sgprSizeI]           // coord0 < size0
v_cmp_lt_u32 s[56:57], v11, s[sgprSizeJ]           // coord1 < size1
s_and_b64 s[56:57], s[54:55], s[56:57]             // in0 && in1
v_mul_lo_u32 v9, v9, s[sgprStrideD1J]              // coord1 element offset =  coord1 * StrideD
_v_add_lshl_u32 v9, v9, v10, 0x0                   // scale to BPE
v_cndmask_b32 v9, -1, v9, s[56:57]                 // clip if OOB. offset
buffer_store_byte v26, v9, s[sgprSrdD:sgprSrdD+3], 0, offen, offset:0 // store D
_v_add_u32 v11, v5, 4                              // coord1 += nColPerLoad
_v_add_u32 v10, v4, 9                              // coord0 += element index of load vector
_v_add_u32 v9, v6, 4                               // offset coord1 += nColPerLoad
v_cmp_lt_u32 s[54:55], v10, s[sgprSizeI]           // coord0 < size0
v_cmp_lt_u32 s[56:57], v11, s[sgprSizeJ]           // coord1 < size1
s_and_b64 s[56:57], s[54:55], s[56:57]             // in0 && in1
v_mul_lo_u32 v9, v9, s[sgprStrideD1J]              // coord1 element offset =  coord1 * StrideD
_v_add_lshl_u32 v9, v9, v10, 0x0                   // scale to BPE
v_cndmask_b32 v9, -1, v9, s[56:57]                 // clip if OOB. offset
v_lshrrev_b32 v17, 8, v26                          // vGWTmp = src >> 8
buffer_store_byte v17, v9, s[sgprSrdD:sgprSrdD+3], 0, offen, offset:0 // store D
_v_add_u32 v11, v5, 4                              // coord1 += nColPerLoad
_v_add_u32 v10, v4, 10                             // coord0 += element index of load vector
_v_add_u32 v9, v6, 4                               // offset coord1 += nColPerLoad
v_cmp_lt_u32 s[54:55], v10, s[sgprSizeI]           // coord0 < size0
v_cmp_lt_u32 s[56:57], v11, s[sgprSizeJ]           // coord1 < size1
s_and_b64 s[56:57], s[54:55], s[56:57]             // in0 && in1
v_mul_lo_u32 v9, v9, s[sgprStrideD1J]              // coord1 element offset =  coord1 * StrideD
_v_add_lshl_u32 v9, v9, v10, 0x0                   // scale to BPE
v_cndmask_b32 v9, -1, v9, s[56:57]                 // clip if OOB. offset
buffer_store_byte_d16_hi v26, v9, s[sgprSrdD:sgprSrdD+3], 0, offen, offset:0 // store D
_v_add_u32 v11, v5, 4                              // coord1 += nColPerLoad
_v_add_u32 v10, v4, 11                             // coord0 += element index of load vector
_v_add_u32 v9, v6, 4                               // offset coord1 += nColPerLoad
v_cmp_lt_u32 s[54:55], v10, s[sgprSizeI]           // coord0 < size0
v_cmp_lt_u32 s[56:57], v11, s[sgprSizeJ]           // coord1 < size1
s_and_b64 s[56:57], s[54:55], s[56:57]             // in0 && in1
v_mul_lo_u32 v9, v9, s[sgprStrideD1J]              // coord1 element offset =  coord1 * StrideD
_v_add_lshl_u32 v9, v9, v10, 0x0                   // scale to BPE
v_cndmask_b32 v9, -1, v9, s[56:57]                 // clip if OOB. offset
v_lshrrev_b32 v17, 8, v26                          // vGWTmp = src >> 8
buffer_store_byte_d16_hi v17, v9, s[sgprSrdD:sgprSrdD+3], 0, offen, offset:0 // store D
_v_add_u32 v11, v5, 4                              // coord1 += nColPerLoad
_v_add_u32 v10, v4, 12                             // coord0 += element index of load vector
_v_add_u32 v9, v6, 4                               // offset coord1 += nColPerLoad
v_cmp_lt_u32 s[54:55], v10, s[sgprSizeI]           // coord0 < size0
v_cmp_lt_u32 s[56:57], v11, s[sgprSizeJ]           // coord1 < size1
s_and_b64 s[56:57], s[54:55], s[56:57]             // in0 && in1
v_mul_lo_u32 v9, v9, s[sgprStrideD1J]              // coord1 element offset =  coord1 * StrideD
_v_add_lshl_u32 v9, v9, v10, 0x0                   // scale to BPE
v_cndmask_b32 v9, -1, v9, s[56:57]                 // clip if OOB. offset
buffer_store_byte v27, v9, s[sgprSrdD:sgprSrdD+3], 0, offen, offset:0 // store D
_v_add_u32 v11, v5, 4                              // coord1 += nColPerLoad
_v_add_u32 v10, v4, 13                             // coord0 += element index of load vector
_v_add_u32 v9, v6, 4                               // offset coord1 += nColPerLoad
v_cmp_lt_u32 s[54:55], v10, s[sgprSizeI]           // coord0 < size0
v_cmp_lt_u32 s[56:57], v11, s[sgprSizeJ]           // coord1 < size1
s_and_b64 s[56:57], s[54:55], s[56:57]             // in0 && in1
v_mul_lo_u32 v9, v9, s[sgprStrideD1J]              // coord1 element offset =  coord1 * StrideD
_v_add_lshl_u32 v9, v9, v10, 0x0                   // scale to BPE
v_cndmask_b32 v9, -1, v9, s[56:57]                 // clip if OOB. offset
v_lshrrev_b32 v17, 8, v27                          // vGWTmp = src >> 8
buffer_store_byte v17, v9, s[sgprSrdD:sgprSrdD+3], 0, offen, offset:0 // store D
_v_add_u32 v11, v5, 4                              // coord1 += nColPerLoad
_v_add_u32 v10, v4, 14                             // coord0 += element index of load vector
_v_add_u32 v9, v6, 4                               // offset coord1 += nColPerLoad
v_cmp_lt_u32 s[54:55], v10, s[sgprSizeI]           // coord0 < size0
v_cmp_lt_u32 s[56:57], v11, s[sgprSizeJ]           // coord1 < size1
s_and_b64 s[56:57], s[54:55], s[56:57]             // in0 && in1
v_mul_lo_u32 v9, v9, s[sgprStrideD1J]              // coord1 element offset =  coord1 * StrideD
_v_add_lshl_u32 v9, v9, v10, 0x0                   // scale to BPE
v_cndmask_b32 v9, -1, v9, s[56:57]                 // clip if OOB. offset
buffer_store_byte_d16_hi v27, v9, s[sgprSrdD:sgprSrdD+3], 0, offen, offset:0 // store D
_v_add_u32 v11, v5, 4                              // coord1 += nColPerLoad
_v_add_u32 v10, v4, 15                             // coord0 += element index of load vector
_v_add_u32 v9, v6, 4                               // offset coord1 += nColPerLoad
v_cmp_lt_u32 s[54:55], v10, s[sgprSizeI]           // coord0 < size0
v_cmp_lt_u32 s[56:57], v11, s[sgprSizeJ]           // coord1 < size1
s_and_b64 s[56:57], s[54:55], s[56:57]             // in0 && in1
v_mul_lo_u32 v9, v9, s[sgprStrideD1J]              // coord1 element offset =  coord1 * StrideD
_v_add_lshl_u32 v9, v9, v10, 0x0                   // scale to BPE
v_cndmask_b32 v9, -1, v9, s[56:57]                 // clip if OOB. offset
v_lshrrev_b32 v17, 8, v27                          // vGWTmp = src >> 8
buffer_store_byte_d16_hi v17, v9, s[sgprSrdD:sgprSrdD+3], 0, offen, offset:0 // store D

s_barrier //wait all lds read finished
s_nop 0                                            // 1 wait state required when next inst writes vgprs held by previous dwordx4 store inst
/* optSingleColVgpr=0 optSharedColVgpr=0 optSGPRUsage=BufferLoad_Edge_Mask optSrdIncForRow=1 */

/******************************************/
/* Global Write Alpha Edge Batch #1 (d1,d0,vc1,vc0) = */
/*    (1,0,0,0:vw4); (1,1,0,0:vw4); (1,2,0,0:vw4); (1,3,0,0:vw4); (1,4,0,0:vw4); (1,5,0,0:vw4); (1,6,0,0:vw4); (1,7,0,0:vw4) */
/******************************************/

/* calc coords, apply mask, and issue loads (if necessary) */
/* (d1,vc1,d0,vc0)=(1,0,0,0) */
_v_add_co_u32 v1, vcc, v1, 32                      // coord1.1: coord1Vgpr += d1*sg1*VW + vc1
_v_add_lshl_u32 v9, v3, v0, 0x0                    // scaleToBpe: accumulate d0 lower and *= bpe into Cin addr
/* (d1,vc1,d0,vc0)=(1,0,1,0) */
_v_add_co_u32 v10, vcc, v0, 8                      // coord0.1: coord0 += d0*sg0*VW + vc0
_v_add_lshl_u32 v17, v3, v10, 0x0                  // scaleToBpe: accumulate d0 lower and *= bpe into Cin addr
/* (d1,vc1,d0,vc0)=(1,0,2,0) */
_v_add_co_u32 v10, vcc, v0, 16                     // coord0.1: coord0 += d0*sg0*VW + vc0
_v_add_lshl_u32 v18, v3, v10, 0x0                  // scaleToBpe: accumulate d0 lower and *= bpe into Cin addr
/* (d1,vc1,d0,vc0)=(1,0,3,0) */
_v_add_co_u32 v10, vcc, v0, 24                     // coord0.1: coord0 += d0*sg0*VW + vc0
_v_add_lshl_u32 v19, v3, v10, 0x0                  // scaleToBpe: accumulate d0 lower and *= bpe into Cin addr
/* (d1,vc1,d0,vc0)=(1,0,4,0) */
s_mov_b32 s54, 128                                 // coordOffset0 d0=4 vc0=0
_v_add_co_u32 v10, vcc, v0, s54                    // coord0.2: coord0 += d0*sg0*VW + vc0
_v_add_lshl_u32 v36, v3, v10, 0x0                  // scaleToBpe: accumulate d0 lower and *= bpe into Cin addr
/* (d1,vc1,d0,vc0)=(1,0,5,0) */
s_mov_b32 s54, 136                                 // coordOffset0 d0=5 vc0=0
_v_add_co_u32 v10, vcc, v0, s54                    // coord0.2: coord0 += d0*sg0*VW + vc0
	;; [unrolled: 4-line block ×4, first 2 shown]
_v_add_lshl_u32 v39, v3, v10, 0x0                  // scaleToBpe: accumulate d0 lower and *= bpe into Cin addr
v_accvgpr_read_b32 v[vgprValuC+20], acc32 // copy acc to vreg[32]
v_accvgpr_read_b32 v[vgprValuC+21], acc33 // copy acc to vreg[33]
v_accvgpr_read_b32 v[vgprValuC+22], acc34 // copy acc to vreg[34]
v_accvgpr_read_b32 v[vgprValuC+23], acc35 // copy acc to vreg[35]
v_accvgpr_read_b32 v[vgprValuC+24], acc36 // copy acc to vreg[36]
v_accvgpr_read_b32 v[vgprValuC+25], acc37 // copy acc to vreg[37]
v_accvgpr_read_b32 v[vgprValuC+26], acc38 // copy acc to vreg[38]
v_accvgpr_read_b32 v[vgprValuC+27], acc39 // copy acc to vreg[39]
v_accvgpr_read_b32 v[vgprValuC+28], acc40 // copy acc to vreg[40]
v_accvgpr_read_b32 v[vgprValuC+29], acc41 // copy acc to vreg[41]
v_accvgpr_read_b32 v[vgprValuC+30], acc42 // copy acc to vreg[42]
v_accvgpr_read_b32 v[vgprValuC+31], acc43 // copy acc to vreg[43]
v_accvgpr_read_b32 v[vgprValuC+32], acc44 // copy acc to vreg[44]
v_accvgpr_read_b32 v[vgprValuC+33], acc45 // copy acc to vreg[45]
v_accvgpr_read_b32 v[vgprValuC+34], acc46 // copy acc to vreg[46]
v_accvgpr_read_b32 v[vgprValuC+35], acc47 // copy acc to vreg[47]
v_accvgpr_read_b32 v[vgprValuC+40], acc48 // copy acc to vreg[48]
v_accvgpr_read_b32 v[vgprValuC+41], acc49 // copy acc to vreg[49]
v_accvgpr_read_b32 v[vgprValuC+42], acc50 // copy acc to vreg[50]
v_accvgpr_read_b32 v[vgprValuC+43], acc51 // copy acc to vreg[51]
v_accvgpr_read_b32 v[vgprValuC+44], acc52 // copy acc to vreg[52]
v_accvgpr_read_b32 v[vgprValuC+45], acc53 // copy acc to vreg[53]
v_accvgpr_read_b32 v[vgprValuC+46], acc54 // copy acc to vreg[54]
v_accvgpr_read_b32 v[vgprValuC+47], acc55 // copy acc to vreg[55]
v_accvgpr_read_b32 v[vgprValuC+48], acc56 // copy acc to vreg[56]
v_accvgpr_read_b32 v[vgprValuC+49], acc57 // copy acc to vreg[57]
v_accvgpr_read_b32 v[vgprValuC+50], acc58 // copy acc to vreg[58]
v_accvgpr_read_b32 v[vgprValuC+51], acc59 // copy acc to vreg[59]
v_accvgpr_read_b32 v[vgprValuC+52], acc60 // copy acc to vreg[60]
v_accvgpr_read_b32 v[vgprValuC+53], acc61 // copy acc to vreg[61]
v_accvgpr_read_b32 v[vgprValuC+54], acc62 // copy acc to vreg[62]
v_accvgpr_read_b32 v[vgprValuC+55], acc63 // copy acc to vreg[63]
s_nop 1                                            // 2 wait states required before reading vgpr

/* rC *= alpha batchElements=[(1, 0, 0, 0), (1, 1, 0, 0), (1, 2, 0, 0), (1, 3, 0, 0), (1, 4, 0, 0), (1, 5, 0, 0), (1, 6, 0, 0), (1, 7, 0, 0)] */
v_mul_f32 v[vgprValuC+20], s[sgprAlpha], v[vgprValuC+20] // *= alpha
v_mul_f32 v[vgprValuC+21], s[sgprAlpha], v[vgprValuC+21] // *= alpha
	;; [unrolled: 1-line block ×32, first 2 shown]

/* apply mask, calc new C and issue writes */
v_mov_b32 v16, 0x207                               // flag for Nan and +/- inf
v_mov_b32 v14, 0x43700000                          // save 240.0f as max for clipping
v_mov_b32 v15, 0xC3700000                          // save -240.0f as min for clipping

/* StoreRemap: shift coord1 address */
s_mul_i32 s54, s[sgprStrideD1J], 32                // scale StrideD *= numRows(32) * bpe
s_add_u32  s[sgprSrdD+0], s[sgprSrdD+0], s54       // incToNextRow: gra SRD += inc(lower)
s_addc_u32  s[sgprSrdD+1], s[sgprSrdD+1], 0        // incToNextRow: gra SRD += inc(upper)
v_mov_b32 v10, 32                                  // set shift rows
_v_add_u32 v5, v5, v10                             // shift storeRemap coord1
v_cmp_class_f32 s[54:55], v[vgprValuC+20], v16     // check NaN and +/-INF
v_med3_f32 v12, v[vgprValuC+20], v14, v15          // Clipping f32 value if exceeds the limit
v_cndmask_b32 v12, v12, v[vgprValuC+20], s[54:55]  // 
v_cmp_class_f32 s[54:55], v[vgprValuC+21], v16     // check NaN and +/-INF
v_med3_f32 v13, v[vgprValuC+21], v14, v15          // Clipping f32 value if exceeds the limit
v_cndmask_b32 v13, v13, v[vgprValuC+21], s[54:55]  // 
v_cvt_pk_fp8_f32  v20, v12, v13 op_sel:[0,0,0]     // convert two f32 accumulated values to fp8 and save it to lo_16[0:15]
v_cmp_class_f32 s[54:55], v[vgprValuC+22], v16     // check NaN and +/-INF
v_med3_f32 v12, v[vgprValuC+22], v14, v15          // Clipping f32 value if exceeds the limit
v_cndmask_b32 v12, v12, v[vgprValuC+22], s[54:55]  // 
v_cmp_class_f32 s[54:55], v[vgprValuC+23], v16     // check NaN and +/-INF
v_med3_f32 v13, v[vgprValuC+23], v14, v15          // Clipping f32 value if exceeds the limit
v_cndmask_b32 v13, v13, v[vgprValuC+23], s[54:55]  // 
v_cvt_pk_fp8_f32  v20, v12, v13 op_sel:[0,0,1]     // convert two f32 accumulated values to fp8 and save it to hi_16[16:31]
_ds_store_b32 v7, v20, offset:0                    // storeRemap lw
v_cmp_class_f32 s[54:55], v[vgprValuC+24], v16     // check NaN and +/-INF
v_med3_f32 v12, v[vgprValuC+24], v14, v15          // Clipping f32 value if exceeds the limit
v_cndmask_b32 v12, v12, v[vgprValuC+24], s[54:55]  // 
v_cmp_class_f32 s[54:55], v[vgprValuC+25], v16     // check NaN and +/-INF
v_med3_f32 v13, v[vgprValuC+25], v14, v15          // Clipping f32 value if exceeds the limit
v_cndmask_b32 v13, v13, v[vgprValuC+25], s[54:55]  // 
v_cvt_pk_fp8_f32  v24, v12, v13 op_sel:[0,0,0]     // convert two f32 accumulated values to fp8 and save it to lo_16[0:15]
v_cmp_class_f32 s[54:55], v[vgprValuC+26], v16     // check NaN and +/-INF
v_med3_f32 v12, v[vgprValuC+26], v14, v15          // Clipping f32 value if exceeds the limit
v_cndmask_b32 v12, v12, v[vgprValuC+26], s[54:55]  // 
v_cmp_class_f32 s[54:55], v[vgprValuC+27], v16     // check NaN and +/-INF
v_med3_f32 v13, v[vgprValuC+27], v14, v15          // Clipping f32 value if exceeds the limit
v_cndmask_b32 v13, v13, v[vgprValuC+27], s[54:55]  // 
v_cvt_pk_fp8_f32  v24, v12, v13 op_sel:[0,0,1]     // convert two f32 accumulated values to fp8 and save it to hi_16[16:31]
_ds_store_b32 v7, v24, offset:8                    // storeRemap lw
v_cmp_class_f32 s[54:55], v[vgprValuC+28], v16     // check NaN and +/-INF
v_med3_f32 v12, v[vgprValuC+28], v14, v15          // Clipping f32 value if exceeds the limit
v_cndmask_b32 v12, v12, v[vgprValuC+28], s[54:55]  // 
v_cmp_class_f32 s[54:55], v[vgprValuC+29], v16     // check NaN and +/-INF
v_med3_f32 v13, v[vgprValuC+29], v14, v15          // Clipping f32 value if exceeds the limit
v_cndmask_b32 v13, v13, v[vgprValuC+29], s[54:55]  // 
v_cvt_pk_fp8_f32  v28, v12, v13 op_sel:[0,0,0]     // convert two f32 accumulated values to fp8 and save it to lo_16[0:15]
v_cmp_class_f32 s[54:55], v[vgprValuC+30], v16     // check NaN and +/-INF
v_med3_f32 v12, v[vgprValuC+30], v14, v15          // Clipping f32 value if exceeds the limit
v_cndmask_b32 v12, v12, v[vgprValuC+30], s[54:55]  // 
v_cmp_class_f32 s[54:55], v[vgprValuC+31], v16     // check NaN and +/-INF
v_med3_f32 v13, v[vgprValuC+31], v14, v15          // Clipping f32 value if exceeds the limit
v_cndmask_b32 v13, v13, v[vgprValuC+31], s[54:55]  // 
v_cvt_pk_fp8_f32  v28, v12, v13 op_sel:[0,0,1]     // convert two f32 accumulated values to fp8 and save it to hi_16[16:31]
_ds_store_b32 v7, v28, offset:16                   // storeRemap lw
v_cmp_class_f32 s[54:55], v[vgprValuC+32], v16     // check NaN and +/-INF
v_med3_f32 v12, v[vgprValuC+32], v14, v15          // Clipping f32 value if exceeds the limit
v_cndmask_b32 v12, v12, v[vgprValuC+32], s[54:55]  // 
v_cmp_class_f32 s[54:55], v[vgprValuC+33], v16     // check NaN and +/-INF
v_med3_f32 v13, v[vgprValuC+33], v14, v15          // Clipping f32 value if exceeds the limit
v_cndmask_b32 v13, v13, v[vgprValuC+33], s[54:55]  // 
v_cvt_pk_fp8_f32  v32, v12, v13 op_sel:[0,0,0]     // convert two f32 accumulated values to fp8 and save it to lo_16[0:15]
v_cmp_class_f32 s[54:55], v[vgprValuC+34], v16     // check NaN and +/-INF
v_med3_f32 v12, v[vgprValuC+34], v14, v15          // Clipping f32 value if exceeds the limit
v_cndmask_b32 v12, v12, v[vgprValuC+34], s[54:55]  // 
v_cmp_class_f32 s[54:55], v[vgprValuC+35], v16     // check NaN and +/-INF
v_med3_f32 v13, v[vgprValuC+35], v14, v15          // Clipping f32 value if exceeds the limit
v_cndmask_b32 v13, v13, v[vgprValuC+35], s[54:55]  // 
v_cvt_pk_fp8_f32  v32, v12, v13 op_sel:[0,0,1]     // convert two f32 accumulated values to fp8 and save it to hi_16[16:31]
_ds_store_b32 v7, v32, offset:24                   // storeRemap lw
v_cmp_class_f32 s[54:55], v[vgprValuC+40], v16     // check NaN and +/-INF
v_med3_f32 v12, v[vgprValuC+40], v14, v15          // Clipping f32 value if exceeds the limit
v_cndmask_b32 v12, v12, v[vgprValuC+40], s[54:55]  // 
v_cmp_class_f32 s[54:55], v[vgprValuC+41], v16     // check NaN and +/-INF
v_med3_f32 v13, v[vgprValuC+41], v14, v15          // Clipping f32 value if exceeds the limit
v_cndmask_b32 v13, v13, v[vgprValuC+41], s[54:55]  // 
v_cvt_pk_fp8_f32  v40, v12, v13 op_sel:[0,0,0]     // convert two f32 accumulated values to fp8 and save it to lo_16[0:15]
v_cmp_class_f32 s[54:55], v[vgprValuC+42], v16     // check NaN and +/-INF
v_med3_f32 v12, v[vgprValuC+42], v14, v15          // Clipping f32 value if exceeds the limit
v_cndmask_b32 v12, v12, v[vgprValuC+42], s[54:55]  // 
v_cmp_class_f32 s[54:55], v[vgprValuC+43], v16     // check NaN and +/-INF
v_med3_f32 v13, v[vgprValuC+43], v14, v15          // Clipping f32 value if exceeds the limit
v_cndmask_b32 v13, v13, v[vgprValuC+43], s[54:55]  // 
v_cvt_pk_fp8_f32  v40, v12, v13 op_sel:[0,0,1]     // convert two f32 accumulated values to fp8 and save it to hi_16[16:31]
_ds_store_b32 v7, v40, offset:128                  // storeRemap lw
v_cmp_class_f32 s[54:55], v[vgprValuC+44], v16     // check NaN and +/-INF
v_med3_f32 v12, v[vgprValuC+44], v14, v15          // Clipping f32 value if exceeds the limit
v_cndmask_b32 v12, v12, v[vgprValuC+44], s[54:55]  // 
v_cmp_class_f32 s[54:55], v[vgprValuC+45], v16     // check NaN and +/-INF
v_med3_f32 v13, v[vgprValuC+45], v14, v15          // Clipping f32 value if exceeds the limit
v_cndmask_b32 v13, v13, v[vgprValuC+45], s[54:55]  // 
v_cvt_pk_fp8_f32  v44, v12, v13 op_sel:[0,0,0]     // convert two f32 accumulated values to fp8 and save it to lo_16[0:15]
v_cmp_class_f32 s[54:55], v[vgprValuC+46], v16     // check NaN and +/-INF
v_med3_f32 v12, v[vgprValuC+46], v14, v15          // Clipping f32 value if exceeds the limit
v_cndmask_b32 v12, v12, v[vgprValuC+46], s[54:55]  // 
v_cmp_class_f32 s[54:55], v[vgprValuC+47], v16     // check NaN and +/-INF
v_med3_f32 v13, v[vgprValuC+47], v14, v15          // Clipping f32 value if exceeds the limit
v_cndmask_b32 v13, v13, v[vgprValuC+47], s[54:55]  // 
v_cvt_pk_fp8_f32  v44, v12, v13 op_sel:[0,0,1]     // convert two f32 accumulated values to fp8 and save it to hi_16[16:31]
_ds_store_b32 v7, v44, offset:136                  // storeRemap lw
v_cmp_class_f32 s[54:55], v[vgprValuC+48], v16     // check NaN and +/-INF
v_med3_f32 v12, v[vgprValuC+48], v14, v15          // Clipping f32 value if exceeds the limit
v_cndmask_b32 v12, v12, v[vgprValuC+48], s[54:55]  // 
v_cmp_class_f32 s[54:55], v[vgprValuC+49], v16     // check NaN and +/-INF
v_med3_f32 v13, v[vgprValuC+49], v14, v15          // Clipping f32 value if exceeds the limit
v_cndmask_b32 v13, v13, v[vgprValuC+49], s[54:55]  // 
v_cvt_pk_fp8_f32  v48, v12, v13 op_sel:[0,0,0]     // convert two f32 accumulated values to fp8 and save it to lo_16[0:15]
v_cmp_class_f32 s[54:55], v[vgprValuC+50], v16     // check NaN and +/-INF
v_med3_f32 v12, v[vgprValuC+50], v14, v15          // Clipping f32 value if exceeds the limit
v_cndmask_b32 v12, v12, v[vgprValuC+50], s[54:55]  // 
v_cmp_class_f32 s[54:55], v[vgprValuC+51], v16     // check NaN and +/-INF
v_med3_f32 v13, v[vgprValuC+51], v14, v15          // Clipping f32 value if exceeds the limit
v_cndmask_b32 v13, v13, v[vgprValuC+51], s[54:55]  // 
v_cvt_pk_fp8_f32  v48, v12, v13 op_sel:[0,0,1]     // convert two f32 accumulated values to fp8 and save it to hi_16[16:31]
_ds_store_b32 v7, v48, offset:144                  // storeRemap lw
v_cmp_class_f32 s[54:55], v[vgprValuC+52], v16     // check NaN and +/-INF
v_med3_f32 v12, v[vgprValuC+52], v14, v15          // Clipping f32 value if exceeds the limit
v_cndmask_b32 v12, v12, v[vgprValuC+52], s[54:55]  // 
v_cmp_class_f32 s[54:55], v[vgprValuC+53], v16     // check NaN and +/-INF
v_med3_f32 v13, v[vgprValuC+53], v14, v15          // Clipping f32 value if exceeds the limit
v_cndmask_b32 v13, v13, v[vgprValuC+53], s[54:55]  // 
v_cvt_pk_fp8_f32  v52, v12, v13 op_sel:[0,0,0]     // convert two f32 accumulated values to fp8 and save it to lo_16[0:15]
v_cmp_class_f32 s[54:55], v[vgprValuC+54], v16     // check NaN and +/-INF
v_med3_f32 v12, v[vgprValuC+54], v14, v15          // Clipping f32 value if exceeds the limit
v_cndmask_b32 v12, v12, v[vgprValuC+54], s[54:55]  // 
v_cmp_class_f32 s[54:55], v[vgprValuC+55], v16     // check NaN and +/-INF
v_med3_f32 v13, v[vgprValuC+55], v14, v15          // Clipping f32 value if exceeds the limit
v_cndmask_b32 v13, v13, v[vgprValuC+55], s[54:55]  // 
v_cvt_pk_fp8_f32  v52, v12, v13 op_sel:[0,0,1]     // convert two f32 accumulated values to fp8 and save it to hi_16[16:31]
_ds_store_b32 v7, v52, offset:152                  // storeRemap lw

/* Handle local read and global write */
s_waitcnt lgkmcnt(0)                               // wait for LDS write
s_barrier //wait all lds write finished

_ds_load_b128 v[20:23], v8, offset:0               // storeRemap lr
_ds_load_b128 v[24:27], v8, offset:1088            // storeRemap lr

s_waitcnt lgkmcnt(1)                               // wait for LDS read
_v_add_u32 v11, v5, 0                              // coord1 += nColPerLoad
_v_add_u32 v10, v4, 0                              // coord0 += element index of load vector
_v_add_u32 v9, v6, 0                               // offset coord1 += nColPerLoad
v_cmp_lt_u32 s[54:55], v10, s[sgprSizeI]           // coord0 < size0
v_cmp_lt_u32 s[56:57], v11, s[sgprSizeJ]           // coord1 < size1
s_and_b64 s[56:57], s[54:55], s[56:57]             // in0 && in1
v_mul_lo_u32 v9, v9, s[sgprStrideD1J]              // coord1 element offset =  coord1 * StrideD
_v_add_lshl_u32 v9, v9, v10, 0x0                   // scale to BPE
v_cndmask_b32 v9, -1, v9, s[56:57]                 // clip if OOB. offset
buffer_store_byte v20, v9, s[sgprSrdD:sgprSrdD+3], 0, offen, offset:0 // store D
_v_add_u32 v11, v5, 0                              // coord1 += nColPerLoad
_v_add_u32 v10, v4, 1                              // coord0 += element index of load vector
_v_add_u32 v9, v6, 0                               // offset coord1 += nColPerLoad
v_cmp_lt_u32 s[54:55], v10, s[sgprSizeI]           // coord0 < size0
v_cmp_lt_u32 s[56:57], v11, s[sgprSizeJ]           // coord1 < size1
s_and_b64 s[56:57], s[54:55], s[56:57]             // in0 && in1
v_mul_lo_u32 v9, v9, s[sgprStrideD1J]              // coord1 element offset =  coord1 * StrideD
_v_add_lshl_u32 v9, v9, v10, 0x0                   // scale to BPE
v_cndmask_b32 v9, -1, v9, s[56:57]                 // clip if OOB. offset
v_lshrrev_b32 v17, 8, v20                          // vGWTmp = src >> 8
buffer_store_byte v17, v9, s[sgprSrdD:sgprSrdD+3], 0, offen, offset:0 // store D
_v_add_u32 v11, v5, 0                              // coord1 += nColPerLoad
_v_add_u32 v10, v4, 2                              // coord0 += element index of load vector
_v_add_u32 v9, v6, 0                               // offset coord1 += nColPerLoad
v_cmp_lt_u32 s[54:55], v10, s[sgprSizeI]           // coord0 < size0
v_cmp_lt_u32 s[56:57], v11, s[sgprSizeJ]           // coord1 < size1
s_and_b64 s[56:57], s[54:55], s[56:57]             // in0 && in1
v_mul_lo_u32 v9, v9, s[sgprStrideD1J]              // coord1 element offset =  coord1 * StrideD
_v_add_lshl_u32 v9, v9, v10, 0x0                   // scale to BPE
v_cndmask_b32 v9, -1, v9, s[56:57]                 // clip if OOB. offset
buffer_store_byte_d16_hi v20, v9, s[sgprSrdD:sgprSrdD+3], 0, offen, offset:0 // store D
_v_add_u32 v11, v5, 0                              // coord1 += nColPerLoad
_v_add_u32 v10, v4, 3                              // coord0 += element index of load vector
_v_add_u32 v9, v6, 0                               // offset coord1 += nColPerLoad
v_cmp_lt_u32 s[54:55], v10, s[sgprSizeI]           // coord0 < size0
v_cmp_lt_u32 s[56:57], v11, s[sgprSizeJ]           // coord1 < size1
s_and_b64 s[56:57], s[54:55], s[56:57]             // in0 && in1
v_mul_lo_u32 v9, v9, s[sgprStrideD1J]              // coord1 element offset =  coord1 * StrideD
_v_add_lshl_u32 v9, v9, v10, 0x0                   // scale to BPE
v_cndmask_b32 v9, -1, v9, s[56:57]                 // clip if OOB. offset
v_lshrrev_b32 v17, 8, v20                          // vGWTmp = src >> 8
buffer_store_byte_d16_hi v17, v9, s[sgprSrdD:sgprSrdD+3], 0, offen, offset:0 // store D
_v_add_u32 v11, v5, 0                              // coord1 += nColPerLoad
_v_add_u32 v10, v4, 4                              // coord0 += element index of load vector
_v_add_u32 v9, v6, 0                               // offset coord1 += nColPerLoad
v_cmp_lt_u32 s[54:55], v10, s[sgprSizeI]           // coord0 < size0
v_cmp_lt_u32 s[56:57], v11, s[sgprSizeJ]           // coord1 < size1
s_and_b64 s[56:57], s[54:55], s[56:57]             // in0 && in1
v_mul_lo_u32 v9, v9, s[sgprStrideD1J]              // coord1 element offset =  coord1 * StrideD
_v_add_lshl_u32 v9, v9, v10, 0x0                   // scale to BPE
v_cndmask_b32 v9, -1, v9, s[56:57]                 // clip if OOB. offset
buffer_store_byte v21, v9, s[sgprSrdD:sgprSrdD+3], 0, offen, offset:0 // store D
_v_add_u32 v11, v5, 0                              // coord1 += nColPerLoad
_v_add_u32 v10, v4, 5                              // coord0 += element index of load vector
_v_add_u32 v9, v6, 0                               // offset coord1 += nColPerLoad
v_cmp_lt_u32 s[54:55], v10, s[sgprSizeI]           // coord0 < size0
v_cmp_lt_u32 s[56:57], v11, s[sgprSizeJ]           // coord1 < size1
s_and_b64 s[56:57], s[54:55], s[56:57]             // in0 && in1
v_mul_lo_u32 v9, v9, s[sgprStrideD1J]              // coord1 element offset =  coord1 * StrideD
_v_add_lshl_u32 v9, v9, v10, 0x0                   // scale to BPE
v_cndmask_b32 v9, -1, v9, s[56:57]                 // clip if OOB. offset
v_lshrrev_b32 v17, 8, v21                          // vGWTmp = src >> 8
buffer_store_byte v17, v9, s[sgprSrdD:sgprSrdD+3], 0, offen, offset:0 // store D
_v_add_u32 v11, v5, 0                              // coord1 += nColPerLoad
_v_add_u32 v10, v4, 6                              // coord0 += element index of load vector
_v_add_u32 v9, v6, 0                               // offset coord1 += nColPerLoad
v_cmp_lt_u32 s[54:55], v10, s[sgprSizeI]           // coord0 < size0
v_cmp_lt_u32 s[56:57], v11, s[sgprSizeJ]           // coord1 < size1
s_and_b64 s[56:57], s[54:55], s[56:57]             // in0 && in1
v_mul_lo_u32 v9, v9, s[sgprStrideD1J]              // coord1 element offset =  coord1 * StrideD
_v_add_lshl_u32 v9, v9, v10, 0x0                   // scale to BPE
v_cndmask_b32 v9, -1, v9, s[56:57]                 // clip if OOB. offset
buffer_store_byte_d16_hi v21, v9, s[sgprSrdD:sgprSrdD+3], 0, offen, offset:0 // store D
_v_add_u32 v11, v5, 0                              // coord1 += nColPerLoad
_v_add_u32 v10, v4, 7                              // coord0 += element index of load vector
_v_add_u32 v9, v6, 0                               // offset coord1 += nColPerLoad
v_cmp_lt_u32 s[54:55], v10, s[sgprSizeI]           // coord0 < size0
v_cmp_lt_u32 s[56:57], v11, s[sgprSizeJ]           // coord1 < size1
s_and_b64 s[56:57], s[54:55], s[56:57]             // in0 && in1
v_mul_lo_u32 v9, v9, s[sgprStrideD1J]              // coord1 element offset =  coord1 * StrideD
_v_add_lshl_u32 v9, v9, v10, 0x0                   // scale to BPE
v_cndmask_b32 v9, -1, v9, s[56:57]                 // clip if OOB. offset
v_lshrrev_b32 v17, 8, v21                          // vGWTmp = src >> 8
buffer_store_byte_d16_hi v17, v9, s[sgprSrdD:sgprSrdD+3], 0, offen, offset:0 // store D
_v_add_u32 v11, v5, 0                              // coord1 += nColPerLoad
_v_add_u32 v10, v4, 8                              // coord0 += element index of load vector
_v_add_u32 v9, v6, 0                               // offset coord1 += nColPerLoad
v_cmp_lt_u32 s[54:55], v10, s[sgprSizeI]           // coord0 < size0
v_cmp_lt_u32 s[56:57], v11, s[sgprSizeJ]           // coord1 < size1
s_and_b64 s[56:57], s[54:55], s[56:57]             // in0 && in1
v_mul_lo_u32 v9, v9, s[sgprStrideD1J]              // coord1 element offset =  coord1 * StrideD
_v_add_lshl_u32 v9, v9, v10, 0x0                   // scale to BPE
v_cndmask_b32 v9, -1, v9, s[56:57]                 // clip if OOB. offset
buffer_store_byte v22, v9, s[sgprSrdD:sgprSrdD+3], 0, offen, offset:0 // store D
_v_add_u32 v11, v5, 0                              // coord1 += nColPerLoad
_v_add_u32 v10, v4, 9                              // coord0 += element index of load vector
_v_add_u32 v9, v6, 0                               // offset coord1 += nColPerLoad
v_cmp_lt_u32 s[54:55], v10, s[sgprSizeI]           // coord0 < size0
v_cmp_lt_u32 s[56:57], v11, s[sgprSizeJ]           // coord1 < size1
s_and_b64 s[56:57], s[54:55], s[56:57]             // in0 && in1
v_mul_lo_u32 v9, v9, s[sgprStrideD1J]              // coord1 element offset =  coord1 * StrideD
_v_add_lshl_u32 v9, v9, v10, 0x0                   // scale to BPE
v_cndmask_b32 v9, -1, v9, s[56:57]                 // clip if OOB. offset
v_lshrrev_b32 v17, 8, v22                          // vGWTmp = src >> 8
buffer_store_byte v17, v9, s[sgprSrdD:sgprSrdD+3], 0, offen, offset:0 // store D
_v_add_u32 v11, v5, 0                              // coord1 += nColPerLoad
_v_add_u32 v10, v4, 10                             // coord0 += element index of load vector
_v_add_u32 v9, v6, 0                               // offset coord1 += nColPerLoad
v_cmp_lt_u32 s[54:55], v10, s[sgprSizeI]           // coord0 < size0
v_cmp_lt_u32 s[56:57], v11, s[sgprSizeJ]           // coord1 < size1
s_and_b64 s[56:57], s[54:55], s[56:57]             // in0 && in1
v_mul_lo_u32 v9, v9, s[sgprStrideD1J]              // coord1 element offset =  coord1 * StrideD
_v_add_lshl_u32 v9, v9, v10, 0x0                   // scale to BPE
v_cndmask_b32 v9, -1, v9, s[56:57]                 // clip if OOB. offset
buffer_store_byte_d16_hi v22, v9, s[sgprSrdD:sgprSrdD+3], 0, offen, offset:0 // store D
_v_add_u32 v11, v5, 0                              // coord1 += nColPerLoad
_v_add_u32 v10, v4, 11                             // coord0 += element index of load vector
_v_add_u32 v9, v6, 0                               // offset coord1 += nColPerLoad
v_cmp_lt_u32 s[54:55], v10, s[sgprSizeI]           // coord0 < size0
v_cmp_lt_u32 s[56:57], v11, s[sgprSizeJ]           // coord1 < size1
s_and_b64 s[56:57], s[54:55], s[56:57]             // in0 && in1
v_mul_lo_u32 v9, v9, s[sgprStrideD1J]              // coord1 element offset =  coord1 * StrideD
_v_add_lshl_u32 v9, v9, v10, 0x0                   // scale to BPE
v_cndmask_b32 v9, -1, v9, s[56:57]                 // clip if OOB. offset
v_lshrrev_b32 v17, 8, v22                          // vGWTmp = src >> 8
buffer_store_byte_d16_hi v17, v9, s[sgprSrdD:sgprSrdD+3], 0, offen, offset:0 // store D
_v_add_u32 v11, v5, 0                              // coord1 += nColPerLoad
_v_add_u32 v10, v4, 12                             // coord0 += element index of load vector
_v_add_u32 v9, v6, 0                               // offset coord1 += nColPerLoad
v_cmp_lt_u32 s[54:55], v10, s[sgprSizeI]           // coord0 < size0
v_cmp_lt_u32 s[56:57], v11, s[sgprSizeJ]           // coord1 < size1
s_and_b64 s[56:57], s[54:55], s[56:57]             // in0 && in1
v_mul_lo_u32 v9, v9, s[sgprStrideD1J]              // coord1 element offset =  coord1 * StrideD
_v_add_lshl_u32 v9, v9, v10, 0x0                   // scale to BPE
v_cndmask_b32 v9, -1, v9, s[56:57]                 // clip if OOB. offset
buffer_store_byte v23, v9, s[sgprSrdD:sgprSrdD+3], 0, offen, offset:0 // store D
_v_add_u32 v11, v5, 0                              // coord1 += nColPerLoad
_v_add_u32 v10, v4, 13                             // coord0 += element index of load vector
_v_add_u32 v9, v6, 0                               // offset coord1 += nColPerLoad
v_cmp_lt_u32 s[54:55], v10, s[sgprSizeI]           // coord0 < size0
v_cmp_lt_u32 s[56:57], v11, s[sgprSizeJ]           // coord1 < size1
s_and_b64 s[56:57], s[54:55], s[56:57]             // in0 && in1
v_mul_lo_u32 v9, v9, s[sgprStrideD1J]              // coord1 element offset =  coord1 * StrideD
_v_add_lshl_u32 v9, v9, v10, 0x0                   // scale to BPE
v_cndmask_b32 v9, -1, v9, s[56:57]                 // clip if OOB. offset
v_lshrrev_b32 v17, 8, v23                          // vGWTmp = src >> 8
buffer_store_byte v17, v9, s[sgprSrdD:sgprSrdD+3], 0, offen, offset:0 // store D
_v_add_u32 v11, v5, 0                              // coord1 += nColPerLoad
_v_add_u32 v10, v4, 14                             // coord0 += element index of load vector
_v_add_u32 v9, v6, 0                               // offset coord1 += nColPerLoad
v_cmp_lt_u32 s[54:55], v10, s[sgprSizeI]           // coord0 < size0
v_cmp_lt_u32 s[56:57], v11, s[sgprSizeJ]           // coord1 < size1
s_and_b64 s[56:57], s[54:55], s[56:57]             // in0 && in1
v_mul_lo_u32 v9, v9, s[sgprStrideD1J]              // coord1 element offset =  coord1 * StrideD
_v_add_lshl_u32 v9, v9, v10, 0x0                   // scale to BPE
v_cndmask_b32 v9, -1, v9, s[56:57]                 // clip if OOB. offset
buffer_store_byte_d16_hi v23, v9, s[sgprSrdD:sgprSrdD+3], 0, offen, offset:0 // store D
_v_add_u32 v11, v5, 0                              // coord1 += nColPerLoad
_v_add_u32 v10, v4, 15                             // coord0 += element index of load vector
_v_add_u32 v9, v6, 0                               // offset coord1 += nColPerLoad
v_cmp_lt_u32 s[54:55], v10, s[sgprSizeI]           // coord0 < size0
v_cmp_lt_u32 s[56:57], v11, s[sgprSizeJ]           // coord1 < size1
s_and_b64 s[56:57], s[54:55], s[56:57]             // in0 && in1
v_mul_lo_u32 v9, v9, s[sgprStrideD1J]              // coord1 element offset =  coord1 * StrideD
_v_add_lshl_u32 v9, v9, v10, 0x0                   // scale to BPE
v_cndmask_b32 v9, -1, v9, s[56:57]                 // clip if OOB. offset
v_lshrrev_b32 v17, 8, v23                          // vGWTmp = src >> 8
buffer_store_byte_d16_hi v17, v9, s[sgprSrdD:sgprSrdD+3], 0, offen, offset:0 // store D
s_waitcnt lgkmcnt(0)                               // wait for LDS read
_v_add_u32 v11, v5, 4                              // coord1 += nColPerLoad
_v_add_u32 v10, v4, 0                              // coord0 += element index of load vector
_v_add_u32 v9, v6, 4                               // offset coord1 += nColPerLoad
v_cmp_lt_u32 s[54:55], v10, s[sgprSizeI]           // coord0 < size0
v_cmp_lt_u32 s[56:57], v11, s[sgprSizeJ]           // coord1 < size1
s_and_b64 s[56:57], s[54:55], s[56:57]             // in0 && in1
v_mul_lo_u32 v9, v9, s[sgprStrideD1J]              // coord1 element offset =  coord1 * StrideD
_v_add_lshl_u32 v9, v9, v10, 0x0                   // scale to BPE
v_cndmask_b32 v9, -1, v9, s[56:57]                 // clip if OOB. offset
buffer_store_byte v24, v9, s[sgprSrdD:sgprSrdD+3], 0, offen, offset:0 // store D
_v_add_u32 v11, v5, 4                              // coord1 += nColPerLoad
_v_add_u32 v10, v4, 1                              // coord0 += element index of load vector
_v_add_u32 v9, v6, 4                               // offset coord1 += nColPerLoad
v_cmp_lt_u32 s[54:55], v10, s[sgprSizeI]           // coord0 < size0
v_cmp_lt_u32 s[56:57], v11, s[sgprSizeJ]           // coord1 < size1
s_and_b64 s[56:57], s[54:55], s[56:57]             // in0 && in1
v_mul_lo_u32 v9, v9, s[sgprStrideD1J]              // coord1 element offset =  coord1 * StrideD
_v_add_lshl_u32 v9, v9, v10, 0x0                   // scale to BPE
v_cndmask_b32 v9, -1, v9, s[56:57]                 // clip if OOB. offset
v_lshrrev_b32 v17, 8, v24                          // vGWTmp = src >> 8
buffer_store_byte v17, v9, s[sgprSrdD:sgprSrdD+3], 0, offen, offset:0 // store D
_v_add_u32 v11, v5, 4                              // coord1 += nColPerLoad
_v_add_u32 v10, v4, 2                              // coord0 += element index of load vector
_v_add_u32 v9, v6, 4                               // offset coord1 += nColPerLoad
v_cmp_lt_u32 s[54:55], v10, s[sgprSizeI]           // coord0 < size0
v_cmp_lt_u32 s[56:57], v11, s[sgprSizeJ]           // coord1 < size1
s_and_b64 s[56:57], s[54:55], s[56:57]             // in0 && in1
v_mul_lo_u32 v9, v9, s[sgprStrideD1J]              // coord1 element offset =  coord1 * StrideD
_v_add_lshl_u32 v9, v9, v10, 0x0                   // scale to BPE
v_cndmask_b32 v9, -1, v9, s[56:57]                 // clip if OOB. offset
buffer_store_byte_d16_hi v24, v9, s[sgprSrdD:sgprSrdD+3], 0, offen, offset:0 // store D
_v_add_u32 v11, v5, 4                              // coord1 += nColPerLoad
_v_add_u32 v10, v4, 3                              // coord0 += element index of load vector
_v_add_u32 v9, v6, 4                               // offset coord1 += nColPerLoad
v_cmp_lt_u32 s[54:55], v10, s[sgprSizeI]           // coord0 < size0
v_cmp_lt_u32 s[56:57], v11, s[sgprSizeJ]           // coord1 < size1
s_and_b64 s[56:57], s[54:55], s[56:57]             // in0 && in1
v_mul_lo_u32 v9, v9, s[sgprStrideD1J]              // coord1 element offset =  coord1 * StrideD
_v_add_lshl_u32 v9, v9, v10, 0x0                   // scale to BPE
v_cndmask_b32 v9, -1, v9, s[56:57]                 // clip if OOB. offset
v_lshrrev_b32 v17, 8, v24                          // vGWTmp = src >> 8
buffer_store_byte_d16_hi v17, v9, s[sgprSrdD:sgprSrdD+3], 0, offen, offset:0 // store D
_v_add_u32 v11, v5, 4                              // coord1 += nColPerLoad
_v_add_u32 v10, v4, 4                              // coord0 += element index of load vector
_v_add_u32 v9, v6, 4                               // offset coord1 += nColPerLoad
v_cmp_lt_u32 s[54:55], v10, s[sgprSizeI]           // coord0 < size0
v_cmp_lt_u32 s[56:57], v11, s[sgprSizeJ]           // coord1 < size1
s_and_b64 s[56:57], s[54:55], s[56:57]             // in0 && in1
v_mul_lo_u32 v9, v9, s[sgprStrideD1J]              // coord1 element offset =  coord1 * StrideD
_v_add_lshl_u32 v9, v9, v10, 0x0                   // scale to BPE
v_cndmask_b32 v9, -1, v9, s[56:57]                 // clip if OOB. offset
buffer_store_byte v25, v9, s[sgprSrdD:sgprSrdD+3], 0, offen, offset:0 // store D
_v_add_u32 v11, v5, 4                              // coord1 += nColPerLoad
_v_add_u32 v10, v4, 5                              // coord0 += element index of load vector
_v_add_u32 v9, v6, 4                               // offset coord1 += nColPerLoad
v_cmp_lt_u32 s[54:55], v10, s[sgprSizeI]           // coord0 < size0
v_cmp_lt_u32 s[56:57], v11, s[sgprSizeJ]           // coord1 < size1
s_and_b64 s[56:57], s[54:55], s[56:57]             // in0 && in1
v_mul_lo_u32 v9, v9, s[sgprStrideD1J]              // coord1 element offset =  coord1 * StrideD
_v_add_lshl_u32 v9, v9, v10, 0x0                   // scale to BPE
v_cndmask_b32 v9, -1, v9, s[56:57]                 // clip if OOB. offset
v_lshrrev_b32 v17, 8, v25                          // vGWTmp = src >> 8
buffer_store_byte v17, v9, s[sgprSrdD:sgprSrdD+3], 0, offen, offset:0 // store D
_v_add_u32 v11, v5, 4                              // coord1 += nColPerLoad
_v_add_u32 v10, v4, 6                              // coord0 += element index of load vector
_v_add_u32 v9, v6, 4                               // offset coord1 += nColPerLoad
v_cmp_lt_u32 s[54:55], v10, s[sgprSizeI]           // coord0 < size0
v_cmp_lt_u32 s[56:57], v11, s[sgprSizeJ]           // coord1 < size1
s_and_b64 s[56:57], s[54:55], s[56:57]             // in0 && in1
v_mul_lo_u32 v9, v9, s[sgprStrideD1J]              // coord1 element offset =  coord1 * StrideD
_v_add_lshl_u32 v9, v9, v10, 0x0                   // scale to BPE
v_cndmask_b32 v9, -1, v9, s[56:57]                 // clip if OOB. offset
buffer_store_byte_d16_hi v25, v9, s[sgprSrdD:sgprSrdD+3], 0, offen, offset:0 // store D
_v_add_u32 v11, v5, 4                              // coord1 += nColPerLoad
_v_add_u32 v10, v4, 7                              // coord0 += element index of load vector
_v_add_u32 v9, v6, 4                               // offset coord1 += nColPerLoad
v_cmp_lt_u32 s[54:55], v10, s[sgprSizeI]           // coord0 < size0
v_cmp_lt_u32 s[56:57], v11, s[sgprSizeJ]           // coord1 < size1
s_and_b64 s[56:57], s[54:55], s[56:57]             // in0 && in1
v_mul_lo_u32 v9, v9, s[sgprStrideD1J]              // coord1 element offset =  coord1 * StrideD
_v_add_lshl_u32 v9, v9, v10, 0x0                   // scale to BPE
v_cndmask_b32 v9, -1, v9, s[56:57]                 // clip if OOB. offset
v_lshrrev_b32 v17, 8, v25                          // vGWTmp = src >> 8
buffer_store_byte_d16_hi v17, v9, s[sgprSrdD:sgprSrdD+3], 0, offen, offset:0 // store D
_v_add_u32 v11, v5, 4                              // coord1 += nColPerLoad
_v_add_u32 v10, v4, 8                              // coord0 += element index of load vector
_v_add_u32 v9, v6, 4                               // offset coord1 += nColPerLoad
v_cmp_lt_u32 s[54:55], v10, s[sgprSizeI]           // coord0 < size0
v_cmp_lt_u32 s[56:57], v11, s[sgprSizeJ]           // coord1 < size1
s_and_b64 s[56:57], s[54:55], s[56:57]             // in0 && in1
v_mul_lo_u32 v9, v9, s[sgprStrideD1J]              // coord1 element offset =  coord1 * StrideD
_v_add_lshl_u32 v9, v9, v10, 0x0                   // scale to BPE
v_cndmask_b32 v9, -1, v9, s[56:57]                 // clip if OOB. offset
buffer_store_byte v26, v9, s[sgprSrdD:sgprSrdD+3], 0, offen, offset:0 // store D
_v_add_u32 v11, v5, 4                              // coord1 += nColPerLoad
_v_add_u32 v10, v4, 9                              // coord0 += element index of load vector
_v_add_u32 v9, v6, 4                               // offset coord1 += nColPerLoad
v_cmp_lt_u32 s[54:55], v10, s[sgprSizeI]           // coord0 < size0
v_cmp_lt_u32 s[56:57], v11, s[sgprSizeJ]           // coord1 < size1
s_and_b64 s[56:57], s[54:55], s[56:57]             // in0 && in1
v_mul_lo_u32 v9, v9, s[sgprStrideD1J]              // coord1 element offset =  coord1 * StrideD
_v_add_lshl_u32 v9, v9, v10, 0x0                   // scale to BPE
v_cndmask_b32 v9, -1, v9, s[56:57]                 // clip if OOB. offset
v_lshrrev_b32 v17, 8, v26                          // vGWTmp = src >> 8
buffer_store_byte v17, v9, s[sgprSrdD:sgprSrdD+3], 0, offen, offset:0 // store D
_v_add_u32 v11, v5, 4                              // coord1 += nColPerLoad
_v_add_u32 v10, v4, 10                             // coord0 += element index of load vector
_v_add_u32 v9, v6, 4                               // offset coord1 += nColPerLoad
v_cmp_lt_u32 s[54:55], v10, s[sgprSizeI]           // coord0 < size0
v_cmp_lt_u32 s[56:57], v11, s[sgprSizeJ]           // coord1 < size1
s_and_b64 s[56:57], s[54:55], s[56:57]             // in0 && in1
v_mul_lo_u32 v9, v9, s[sgprStrideD1J]              // coord1 element offset =  coord1 * StrideD
_v_add_lshl_u32 v9, v9, v10, 0x0                   // scale to BPE
v_cndmask_b32 v9, -1, v9, s[56:57]                 // clip if OOB. offset
buffer_store_byte_d16_hi v26, v9, s[sgprSrdD:sgprSrdD+3], 0, offen, offset:0 // store D
_v_add_u32 v11, v5, 4                              // coord1 += nColPerLoad
_v_add_u32 v10, v4, 11                             // coord0 += element index of load vector
_v_add_u32 v9, v6, 4                               // offset coord1 += nColPerLoad
v_cmp_lt_u32 s[54:55], v10, s[sgprSizeI]           // coord0 < size0
v_cmp_lt_u32 s[56:57], v11, s[sgprSizeJ]           // coord1 < size1
s_and_b64 s[56:57], s[54:55], s[56:57]             // in0 && in1
v_mul_lo_u32 v9, v9, s[sgprStrideD1J]              // coord1 element offset =  coord1 * StrideD
_v_add_lshl_u32 v9, v9, v10, 0x0                   // scale to BPE
v_cndmask_b32 v9, -1, v9, s[56:57]                 // clip if OOB. offset
v_lshrrev_b32 v17, 8, v26                          // vGWTmp = src >> 8
buffer_store_byte_d16_hi v17, v9, s[sgprSrdD:sgprSrdD+3], 0, offen, offset:0 // store D
_v_add_u32 v11, v5, 4                              // coord1 += nColPerLoad
_v_add_u32 v10, v4, 12                             // coord0 += element index of load vector
_v_add_u32 v9, v6, 4                               // offset coord1 += nColPerLoad
v_cmp_lt_u32 s[54:55], v10, s[sgprSizeI]           // coord0 < size0
v_cmp_lt_u32 s[56:57], v11, s[sgprSizeJ]           // coord1 < size1
s_and_b64 s[56:57], s[54:55], s[56:57]             // in0 && in1
v_mul_lo_u32 v9, v9, s[sgprStrideD1J]              // coord1 element offset =  coord1 * StrideD
_v_add_lshl_u32 v9, v9, v10, 0x0                   // scale to BPE
v_cndmask_b32 v9, -1, v9, s[56:57]                 // clip if OOB. offset
buffer_store_byte v27, v9, s[sgprSrdD:sgprSrdD+3], 0, offen, offset:0 // store D
_v_add_u32 v11, v5, 4                              // coord1 += nColPerLoad
_v_add_u32 v10, v4, 13                             // coord0 += element index of load vector
_v_add_u32 v9, v6, 4                               // offset coord1 += nColPerLoad
v_cmp_lt_u32 s[54:55], v10, s[sgprSizeI]           // coord0 < size0
v_cmp_lt_u32 s[56:57], v11, s[sgprSizeJ]           // coord1 < size1
s_and_b64 s[56:57], s[54:55], s[56:57]             // in0 && in1
v_mul_lo_u32 v9, v9, s[sgprStrideD1J]              // coord1 element offset =  coord1 * StrideD
_v_add_lshl_u32 v9, v9, v10, 0x0                   // scale to BPE
v_cndmask_b32 v9, -1, v9, s[56:57]                 // clip if OOB. offset
v_lshrrev_b32 v17, 8, v27                          // vGWTmp = src >> 8
buffer_store_byte v17, v9, s[sgprSrdD:sgprSrdD+3], 0, offen, offset:0 // store D
_v_add_u32 v11, v5, 4                              // coord1 += nColPerLoad
_v_add_u32 v10, v4, 14                             // coord0 += element index of load vector
_v_add_u32 v9, v6, 4                               // offset coord1 += nColPerLoad
v_cmp_lt_u32 s[54:55], v10, s[sgprSizeI]           // coord0 < size0
v_cmp_lt_u32 s[56:57], v11, s[sgprSizeJ]           // coord1 < size1
s_and_b64 s[56:57], s[54:55], s[56:57]             // in0 && in1
v_mul_lo_u32 v9, v9, s[sgprStrideD1J]              // coord1 element offset =  coord1 * StrideD
_v_add_lshl_u32 v9, v9, v10, 0x0                   // scale to BPE
v_cndmask_b32 v9, -1, v9, s[56:57]                 // clip if OOB. offset
buffer_store_byte_d16_hi v27, v9, s[sgprSrdD:sgprSrdD+3], 0, offen, offset:0 // store D
_v_add_u32 v11, v5, 4                              // coord1 += nColPerLoad
_v_add_u32 v10, v4, 15                             // coord0 += element index of load vector
_v_add_u32 v9, v6, 4                               // offset coord1 += nColPerLoad
v_cmp_lt_u32 s[54:55], v10, s[sgprSizeI]           // coord0 < size0
v_cmp_lt_u32 s[56:57], v11, s[sgprSizeJ]           // coord1 < size1
s_and_b64 s[56:57], s[54:55], s[56:57]             // in0 && in1
v_mul_lo_u32 v9, v9, s[sgprStrideD1J]              // coord1 element offset =  coord1 * StrideD
_v_add_lshl_u32 v9, v9, v10, 0x0                   // scale to BPE
v_cndmask_b32 v9, -1, v9, s[56:57]                 // clip if OOB. offset
v_lshrrev_b32 v17, 8, v27                          // vGWTmp = src >> 8
buffer_store_byte_d16_hi v17, v9, s[sgprSrdD:sgprSrdD+3], 0, offen, offset:0 // store D

s_barrier //wait all lds read finished
s_nop 0                                            // 1 wait state required when next inst writes vgprs held by previous dwordx4 store inst
/* optSingleColVgpr=0 optSharedColVgpr=0 optSGPRUsage=BufferLoad_Edge_Mask optSrdIncForRow=1 */

/******************************************/
/* Global Write Alpha Edge Batch #2 (d1,d0,vc1,vc0) = */
/*    (2,0,0,0:vw4); (2,1,0,0:vw4); (2,2,0,0:vw4); (2,3,0,0:vw4); (2,4,0,0:vw4); (2,5,0,0:vw4); (2,6,0,0:vw4); (2,7,0,0:vw4) */
/******************************************/

/* calc coords, apply mask, and issue loads (if necessary) */
/* (d1,vc1,d0,vc0)=(2,0,0,0) */
_v_add_co_u32 v1, vcc, v1, 32                      // coord1.1: coord1Vgpr += d1*sg1*VW + vc1
_v_add_lshl_u32 v9, v3, v0, 0x0                    // scaleToBpe: accumulate d0 lower and *= bpe into Cin addr
/* (d1,vc1,d0,vc0)=(2,0,1,0) */
_v_add_co_u32 v10, vcc, v0, 8                      // coord0.1: coord0 += d0*sg0*VW + vc0
_v_add_lshl_u32 v17, v3, v10, 0x0                  // scaleToBpe: accumulate d0 lower and *= bpe into Cin addr
/* (d1,vc1,d0,vc0)=(2,0,2,0) */
_v_add_co_u32 v10, vcc, v0, 16                     // coord0.1: coord0 += d0*sg0*VW + vc0
_v_add_lshl_u32 v18, v3, v10, 0x0                  // scaleToBpe: accumulate d0 lower and *= bpe into Cin addr
/* (d1,vc1,d0,vc0)=(2,0,3,0) */
_v_add_co_u32 v10, vcc, v0, 24                     // coord0.1: coord0 += d0*sg0*VW + vc0
_v_add_lshl_u32 v19, v3, v10, 0x0                  // scaleToBpe: accumulate d0 lower and *= bpe into Cin addr
/* (d1,vc1,d0,vc0)=(2,0,4,0) */
s_mov_b32 s54, 128                                 // coordOffset0 d0=4 vc0=0
_v_add_co_u32 v10, vcc, v0, s54                    // coord0.2: coord0 += d0*sg0*VW + vc0
_v_add_lshl_u32 v36, v3, v10, 0x0                  // scaleToBpe: accumulate d0 lower and *= bpe into Cin addr
/* (d1,vc1,d0,vc0)=(2,0,5,0) */
s_mov_b32 s54, 136                                 // coordOffset0 d0=5 vc0=0
_v_add_co_u32 v10, vcc, v0, s54                    // coord0.2: coord0 += d0*sg0*VW + vc0
	;; [unrolled: 4-line block ×4, first 2 shown]
_v_add_lshl_u32 v39, v3, v10, 0x0                  // scaleToBpe: accumulate d0 lower and *= bpe into Cin addr
v_accvgpr_read_b32 v[vgprValuC+20], acc64 // copy acc to vreg[64]
v_accvgpr_read_b32 v[vgprValuC+21], acc65 // copy acc to vreg[65]
v_accvgpr_read_b32 v[vgprValuC+22], acc66 // copy acc to vreg[66]
v_accvgpr_read_b32 v[vgprValuC+23], acc67 // copy acc to vreg[67]
v_accvgpr_read_b32 v[vgprValuC+24], acc68 // copy acc to vreg[68]
v_accvgpr_read_b32 v[vgprValuC+25], acc69 // copy acc to vreg[69]
v_accvgpr_read_b32 v[vgprValuC+26], acc70 // copy acc to vreg[70]
v_accvgpr_read_b32 v[vgprValuC+27], acc71 // copy acc to vreg[71]
v_accvgpr_read_b32 v[vgprValuC+28], acc72 // copy acc to vreg[72]
v_accvgpr_read_b32 v[vgprValuC+29], acc73 // copy acc to vreg[73]
v_accvgpr_read_b32 v[vgprValuC+30], acc74 // copy acc to vreg[74]
v_accvgpr_read_b32 v[vgprValuC+31], acc75 // copy acc to vreg[75]
v_accvgpr_read_b32 v[vgprValuC+32], acc76 // copy acc to vreg[76]
v_accvgpr_read_b32 v[vgprValuC+33], acc77 // copy acc to vreg[77]
v_accvgpr_read_b32 v[vgprValuC+34], acc78 // copy acc to vreg[78]
v_accvgpr_read_b32 v[vgprValuC+35], acc79 // copy acc to vreg[79]
v_accvgpr_read_b32 v[vgprValuC+40], acc80 // copy acc to vreg[80]
v_accvgpr_read_b32 v[vgprValuC+41], acc81 // copy acc to vreg[81]
v_accvgpr_read_b32 v[vgprValuC+42], acc82 // copy acc to vreg[82]
v_accvgpr_read_b32 v[vgprValuC+43], acc83 // copy acc to vreg[83]
v_accvgpr_read_b32 v[vgprValuC+44], acc84 // copy acc to vreg[84]
v_accvgpr_read_b32 v[vgprValuC+45], acc85 // copy acc to vreg[85]
v_accvgpr_read_b32 v[vgprValuC+46], acc86 // copy acc to vreg[86]
v_accvgpr_read_b32 v[vgprValuC+47], acc87 // copy acc to vreg[87]
v_accvgpr_read_b32 v[vgprValuC+48], acc88 // copy acc to vreg[88]
v_accvgpr_read_b32 v[vgprValuC+49], acc89 // copy acc to vreg[89]
v_accvgpr_read_b32 v[vgprValuC+50], acc90 // copy acc to vreg[90]
v_accvgpr_read_b32 v[vgprValuC+51], acc91 // copy acc to vreg[91]
v_accvgpr_read_b32 v[vgprValuC+52], acc92 // copy acc to vreg[92]
v_accvgpr_read_b32 v[vgprValuC+53], acc93 // copy acc to vreg[93]
v_accvgpr_read_b32 v[vgprValuC+54], acc94 // copy acc to vreg[94]
v_accvgpr_read_b32 v[vgprValuC+55], acc95 // copy acc to vreg[95]
s_nop 1                                            // 2 wait states required before reading vgpr

/* rC *= alpha batchElements=[(2, 0, 0, 0), (2, 1, 0, 0), (2, 2, 0, 0), (2, 3, 0, 0), (2, 4, 0, 0), (2, 5, 0, 0), (2, 6, 0, 0), (2, 7, 0, 0)] */
v_mul_f32 v[vgprValuC+20], s[sgprAlpha], v[vgprValuC+20] // *= alpha
v_mul_f32 v[vgprValuC+21], s[sgprAlpha], v[vgprValuC+21] // *= alpha
	;; [unrolled: 1-line block ×32, first 2 shown]

/* apply mask, calc new C and issue writes */
v_mov_b32 v16, 0x207                               // flag for Nan and +/- inf
v_mov_b32 v14, 0x43700000                          // save 240.0f as max for clipping
v_mov_b32 v15, 0xC3700000                          // save -240.0f as min for clipping

/* StoreRemap: shift coord1 address */
s_mul_i32 s54, s[sgprStrideD1J], 32                // scale StrideD *= numRows(32) * bpe
s_add_u32  s[sgprSrdD+0], s[sgprSrdD+0], s54       // incToNextRow: gra SRD += inc(lower)
s_addc_u32  s[sgprSrdD+1], s[sgprSrdD+1], 0        // incToNextRow: gra SRD += inc(upper)
v_mov_b32 v10, 32                                  // set shift rows
_v_add_u32 v5, v5, v10                             // shift storeRemap coord1
v_cmp_class_f32 s[54:55], v[vgprValuC+20], v16     // check NaN and +/-INF
v_med3_f32 v12, v[vgprValuC+20], v14, v15          // Clipping f32 value if exceeds the limit
v_cndmask_b32 v12, v12, v[vgprValuC+20], s[54:55]  // 
v_cmp_class_f32 s[54:55], v[vgprValuC+21], v16     // check NaN and +/-INF
v_med3_f32 v13, v[vgprValuC+21], v14, v15          // Clipping f32 value if exceeds the limit
v_cndmask_b32 v13, v13, v[vgprValuC+21], s[54:55]  // 
v_cvt_pk_fp8_f32  v20, v12, v13 op_sel:[0,0,0]     // convert two f32 accumulated values to fp8 and save it to lo_16[0:15]
v_cmp_class_f32 s[54:55], v[vgprValuC+22], v16     // check NaN and +/-INF
v_med3_f32 v12, v[vgprValuC+22], v14, v15          // Clipping f32 value if exceeds the limit
v_cndmask_b32 v12, v12, v[vgprValuC+22], s[54:55]  // 
v_cmp_class_f32 s[54:55], v[vgprValuC+23], v16     // check NaN and +/-INF
v_med3_f32 v13, v[vgprValuC+23], v14, v15          // Clipping f32 value if exceeds the limit
v_cndmask_b32 v13, v13, v[vgprValuC+23], s[54:55]  // 
v_cvt_pk_fp8_f32  v20, v12, v13 op_sel:[0,0,1]     // convert two f32 accumulated values to fp8 and save it to hi_16[16:31]
_ds_store_b32 v7, v20, offset:0                    // storeRemap lw
v_cmp_class_f32 s[54:55], v[vgprValuC+24], v16     // check NaN and +/-INF
v_med3_f32 v12, v[vgprValuC+24], v14, v15          // Clipping f32 value if exceeds the limit
v_cndmask_b32 v12, v12, v[vgprValuC+24], s[54:55]  // 
v_cmp_class_f32 s[54:55], v[vgprValuC+25], v16     // check NaN and +/-INF
v_med3_f32 v13, v[vgprValuC+25], v14, v15          // Clipping f32 value if exceeds the limit
v_cndmask_b32 v13, v13, v[vgprValuC+25], s[54:55]  // 
v_cvt_pk_fp8_f32  v24, v12, v13 op_sel:[0,0,0]     // convert two f32 accumulated values to fp8 and save it to lo_16[0:15]
v_cmp_class_f32 s[54:55], v[vgprValuC+26], v16     // check NaN and +/-INF
v_med3_f32 v12, v[vgprValuC+26], v14, v15          // Clipping f32 value if exceeds the limit
v_cndmask_b32 v12, v12, v[vgprValuC+26], s[54:55]  // 
v_cmp_class_f32 s[54:55], v[vgprValuC+27], v16     // check NaN and +/-INF
v_med3_f32 v13, v[vgprValuC+27], v14, v15          // Clipping f32 value if exceeds the limit
v_cndmask_b32 v13, v13, v[vgprValuC+27], s[54:55]  // 
v_cvt_pk_fp8_f32  v24, v12, v13 op_sel:[0,0,1]     // convert two f32 accumulated values to fp8 and save it to hi_16[16:31]
_ds_store_b32 v7, v24, offset:8                    // storeRemap lw
v_cmp_class_f32 s[54:55], v[vgprValuC+28], v16     // check NaN and +/-INF
v_med3_f32 v12, v[vgprValuC+28], v14, v15          // Clipping f32 value if exceeds the limit
v_cndmask_b32 v12, v12, v[vgprValuC+28], s[54:55]  // 
v_cmp_class_f32 s[54:55], v[vgprValuC+29], v16     // check NaN and +/-INF
v_med3_f32 v13, v[vgprValuC+29], v14, v15          // Clipping f32 value if exceeds the limit
v_cndmask_b32 v13, v13, v[vgprValuC+29], s[54:55]  // 
v_cvt_pk_fp8_f32  v28, v12, v13 op_sel:[0,0,0]     // convert two f32 accumulated values to fp8 and save it to lo_16[0:15]
v_cmp_class_f32 s[54:55], v[vgprValuC+30], v16     // check NaN and +/-INF
v_med3_f32 v12, v[vgprValuC+30], v14, v15          // Clipping f32 value if exceeds the limit
v_cndmask_b32 v12, v12, v[vgprValuC+30], s[54:55]  // 
v_cmp_class_f32 s[54:55], v[vgprValuC+31], v16     // check NaN and +/-INF
v_med3_f32 v13, v[vgprValuC+31], v14, v15          // Clipping f32 value if exceeds the limit
v_cndmask_b32 v13, v13, v[vgprValuC+31], s[54:55]  // 
v_cvt_pk_fp8_f32  v28, v12, v13 op_sel:[0,0,1]     // convert two f32 accumulated values to fp8 and save it to hi_16[16:31]
_ds_store_b32 v7, v28, offset:16                   // storeRemap lw
v_cmp_class_f32 s[54:55], v[vgprValuC+32], v16     // check NaN and +/-INF
v_med3_f32 v12, v[vgprValuC+32], v14, v15          // Clipping f32 value if exceeds the limit
v_cndmask_b32 v12, v12, v[vgprValuC+32], s[54:55]  // 
v_cmp_class_f32 s[54:55], v[vgprValuC+33], v16     // check NaN and +/-INF
v_med3_f32 v13, v[vgprValuC+33], v14, v15          // Clipping f32 value if exceeds the limit
v_cndmask_b32 v13, v13, v[vgprValuC+33], s[54:55]  // 
v_cvt_pk_fp8_f32  v32, v12, v13 op_sel:[0,0,0]     // convert two f32 accumulated values to fp8 and save it to lo_16[0:15]
v_cmp_class_f32 s[54:55], v[vgprValuC+34], v16     // check NaN and +/-INF
v_med3_f32 v12, v[vgprValuC+34], v14, v15          // Clipping f32 value if exceeds the limit
v_cndmask_b32 v12, v12, v[vgprValuC+34], s[54:55]  // 
v_cmp_class_f32 s[54:55], v[vgprValuC+35], v16     // check NaN and +/-INF
v_med3_f32 v13, v[vgprValuC+35], v14, v15          // Clipping f32 value if exceeds the limit
v_cndmask_b32 v13, v13, v[vgprValuC+35], s[54:55]  // 
v_cvt_pk_fp8_f32  v32, v12, v13 op_sel:[0,0,1]     // convert two f32 accumulated values to fp8 and save it to hi_16[16:31]
_ds_store_b32 v7, v32, offset:24                   // storeRemap lw
v_cmp_class_f32 s[54:55], v[vgprValuC+40], v16     // check NaN and +/-INF
v_med3_f32 v12, v[vgprValuC+40], v14, v15          // Clipping f32 value if exceeds the limit
v_cndmask_b32 v12, v12, v[vgprValuC+40], s[54:55]  // 
v_cmp_class_f32 s[54:55], v[vgprValuC+41], v16     // check NaN and +/-INF
v_med3_f32 v13, v[vgprValuC+41], v14, v15          // Clipping f32 value if exceeds the limit
v_cndmask_b32 v13, v13, v[vgprValuC+41], s[54:55]  // 
v_cvt_pk_fp8_f32  v40, v12, v13 op_sel:[0,0,0]     // convert two f32 accumulated values to fp8 and save it to lo_16[0:15]
v_cmp_class_f32 s[54:55], v[vgprValuC+42], v16     // check NaN and +/-INF
v_med3_f32 v12, v[vgprValuC+42], v14, v15          // Clipping f32 value if exceeds the limit
v_cndmask_b32 v12, v12, v[vgprValuC+42], s[54:55]  // 
v_cmp_class_f32 s[54:55], v[vgprValuC+43], v16     // check NaN and +/-INF
v_med3_f32 v13, v[vgprValuC+43], v14, v15          // Clipping f32 value if exceeds the limit
v_cndmask_b32 v13, v13, v[vgprValuC+43], s[54:55]  // 
v_cvt_pk_fp8_f32  v40, v12, v13 op_sel:[0,0,1]     // convert two f32 accumulated values to fp8 and save it to hi_16[16:31]
_ds_store_b32 v7, v40, offset:128                  // storeRemap lw
v_cmp_class_f32 s[54:55], v[vgprValuC+44], v16     // check NaN and +/-INF
v_med3_f32 v12, v[vgprValuC+44], v14, v15          // Clipping f32 value if exceeds the limit
v_cndmask_b32 v12, v12, v[vgprValuC+44], s[54:55]  // 
v_cmp_class_f32 s[54:55], v[vgprValuC+45], v16     // check NaN and +/-INF
v_med3_f32 v13, v[vgprValuC+45], v14, v15          // Clipping f32 value if exceeds the limit
v_cndmask_b32 v13, v13, v[vgprValuC+45], s[54:55]  // 
v_cvt_pk_fp8_f32  v44, v12, v13 op_sel:[0,0,0]     // convert two f32 accumulated values to fp8 and save it to lo_16[0:15]
v_cmp_class_f32 s[54:55], v[vgprValuC+46], v16     // check NaN and +/-INF
v_med3_f32 v12, v[vgprValuC+46], v14, v15          // Clipping f32 value if exceeds the limit
v_cndmask_b32 v12, v12, v[vgprValuC+46], s[54:55]  // 
v_cmp_class_f32 s[54:55], v[vgprValuC+47], v16     // check NaN and +/-INF
v_med3_f32 v13, v[vgprValuC+47], v14, v15          // Clipping f32 value if exceeds the limit
v_cndmask_b32 v13, v13, v[vgprValuC+47], s[54:55]  // 
v_cvt_pk_fp8_f32  v44, v12, v13 op_sel:[0,0,1]     // convert two f32 accumulated values to fp8 and save it to hi_16[16:31]
_ds_store_b32 v7, v44, offset:136                  // storeRemap lw
v_cmp_class_f32 s[54:55], v[vgprValuC+48], v16     // check NaN and +/-INF
v_med3_f32 v12, v[vgprValuC+48], v14, v15          // Clipping f32 value if exceeds the limit
v_cndmask_b32 v12, v12, v[vgprValuC+48], s[54:55]  // 
v_cmp_class_f32 s[54:55], v[vgprValuC+49], v16     // check NaN and +/-INF
v_med3_f32 v13, v[vgprValuC+49], v14, v15          // Clipping f32 value if exceeds the limit
v_cndmask_b32 v13, v13, v[vgprValuC+49], s[54:55]  // 
v_cvt_pk_fp8_f32  v48, v12, v13 op_sel:[0,0,0]     // convert two f32 accumulated values to fp8 and save it to lo_16[0:15]
v_cmp_class_f32 s[54:55], v[vgprValuC+50], v16     // check NaN and +/-INF
v_med3_f32 v12, v[vgprValuC+50], v14, v15          // Clipping f32 value if exceeds the limit
v_cndmask_b32 v12, v12, v[vgprValuC+50], s[54:55]  // 
v_cmp_class_f32 s[54:55], v[vgprValuC+51], v16     // check NaN and +/-INF
v_med3_f32 v13, v[vgprValuC+51], v14, v15          // Clipping f32 value if exceeds the limit
v_cndmask_b32 v13, v13, v[vgprValuC+51], s[54:55]  // 
v_cvt_pk_fp8_f32  v48, v12, v13 op_sel:[0,0,1]     // convert two f32 accumulated values to fp8 and save it to hi_16[16:31]
_ds_store_b32 v7, v48, offset:144                  // storeRemap lw
v_cmp_class_f32 s[54:55], v[vgprValuC+52], v16     // check NaN and +/-INF
v_med3_f32 v12, v[vgprValuC+52], v14, v15          // Clipping f32 value if exceeds the limit
v_cndmask_b32 v12, v12, v[vgprValuC+52], s[54:55]  // 
v_cmp_class_f32 s[54:55], v[vgprValuC+53], v16     // check NaN and +/-INF
v_med3_f32 v13, v[vgprValuC+53], v14, v15          // Clipping f32 value if exceeds the limit
v_cndmask_b32 v13, v13, v[vgprValuC+53], s[54:55]  // 
v_cvt_pk_fp8_f32  v52, v12, v13 op_sel:[0,0,0]     // convert two f32 accumulated values to fp8 and save it to lo_16[0:15]
v_cmp_class_f32 s[54:55], v[vgprValuC+54], v16     // check NaN and +/-INF
v_med3_f32 v12, v[vgprValuC+54], v14, v15          // Clipping f32 value if exceeds the limit
v_cndmask_b32 v12, v12, v[vgprValuC+54], s[54:55]  // 
v_cmp_class_f32 s[54:55], v[vgprValuC+55], v16     // check NaN and +/-INF
v_med3_f32 v13, v[vgprValuC+55], v14, v15          // Clipping f32 value if exceeds the limit
v_cndmask_b32 v13, v13, v[vgprValuC+55], s[54:55]  // 
v_cvt_pk_fp8_f32  v52, v12, v13 op_sel:[0,0,1]     // convert two f32 accumulated values to fp8 and save it to hi_16[16:31]
_ds_store_b32 v7, v52, offset:152                  // storeRemap lw

/* Handle local read and global write */
s_waitcnt lgkmcnt(0)                               // wait for LDS write
s_barrier //wait all lds write finished

_ds_load_b128 v[20:23], v8, offset:0               // storeRemap lr
_ds_load_b128 v[24:27], v8, offset:1088            // storeRemap lr

s_waitcnt lgkmcnt(1)                               // wait for LDS read
_v_add_u32 v11, v5, 0                              // coord1 += nColPerLoad
_v_add_u32 v10, v4, 0                              // coord0 += element index of load vector
_v_add_u32 v9, v6, 0                               // offset coord1 += nColPerLoad
v_cmp_lt_u32 s[54:55], v10, s[sgprSizeI]           // coord0 < size0
v_cmp_lt_u32 s[56:57], v11, s[sgprSizeJ]           // coord1 < size1
s_and_b64 s[56:57], s[54:55], s[56:57]             // in0 && in1
v_mul_lo_u32 v9, v9, s[sgprStrideD1J]              // coord1 element offset =  coord1 * StrideD
_v_add_lshl_u32 v9, v9, v10, 0x0                   // scale to BPE
v_cndmask_b32 v9, -1, v9, s[56:57]                 // clip if OOB. offset
buffer_store_byte v20, v9, s[sgprSrdD:sgprSrdD+3], 0, offen, offset:0 // store D
_v_add_u32 v11, v5, 0                              // coord1 += nColPerLoad
_v_add_u32 v10, v4, 1                              // coord0 += element index of load vector
_v_add_u32 v9, v6, 0                               // offset coord1 += nColPerLoad
v_cmp_lt_u32 s[54:55], v10, s[sgprSizeI]           // coord0 < size0
v_cmp_lt_u32 s[56:57], v11, s[sgprSizeJ]           // coord1 < size1
s_and_b64 s[56:57], s[54:55], s[56:57]             // in0 && in1
v_mul_lo_u32 v9, v9, s[sgprStrideD1J]              // coord1 element offset =  coord1 * StrideD
_v_add_lshl_u32 v9, v9, v10, 0x0                   // scale to BPE
v_cndmask_b32 v9, -1, v9, s[56:57]                 // clip if OOB. offset
v_lshrrev_b32 v17, 8, v20                          // vGWTmp = src >> 8
buffer_store_byte v17, v9, s[sgprSrdD:sgprSrdD+3], 0, offen, offset:0 // store D
_v_add_u32 v11, v5, 0                              // coord1 += nColPerLoad
_v_add_u32 v10, v4, 2                              // coord0 += element index of load vector
_v_add_u32 v9, v6, 0                               // offset coord1 += nColPerLoad
v_cmp_lt_u32 s[54:55], v10, s[sgprSizeI]           // coord0 < size0
v_cmp_lt_u32 s[56:57], v11, s[sgprSizeJ]           // coord1 < size1
s_and_b64 s[56:57], s[54:55], s[56:57]             // in0 && in1
v_mul_lo_u32 v9, v9, s[sgprStrideD1J]              // coord1 element offset =  coord1 * StrideD
_v_add_lshl_u32 v9, v9, v10, 0x0                   // scale to BPE
v_cndmask_b32 v9, -1, v9, s[56:57]                 // clip if OOB. offset
buffer_store_byte_d16_hi v20, v9, s[sgprSrdD:sgprSrdD+3], 0, offen, offset:0 // store D
_v_add_u32 v11, v5, 0                              // coord1 += nColPerLoad
_v_add_u32 v10, v4, 3                              // coord0 += element index of load vector
_v_add_u32 v9, v6, 0                               // offset coord1 += nColPerLoad
v_cmp_lt_u32 s[54:55], v10, s[sgprSizeI]           // coord0 < size0
v_cmp_lt_u32 s[56:57], v11, s[sgprSizeJ]           // coord1 < size1
s_and_b64 s[56:57], s[54:55], s[56:57]             // in0 && in1
v_mul_lo_u32 v9, v9, s[sgprStrideD1J]              // coord1 element offset =  coord1 * StrideD
_v_add_lshl_u32 v9, v9, v10, 0x0                   // scale to BPE
v_cndmask_b32 v9, -1, v9, s[56:57]                 // clip if OOB. offset
v_lshrrev_b32 v17, 8, v20                          // vGWTmp = src >> 8
buffer_store_byte_d16_hi v17, v9, s[sgprSrdD:sgprSrdD+3], 0, offen, offset:0 // store D
_v_add_u32 v11, v5, 0                              // coord1 += nColPerLoad
_v_add_u32 v10, v4, 4                              // coord0 += element index of load vector
_v_add_u32 v9, v6, 0                               // offset coord1 += nColPerLoad
v_cmp_lt_u32 s[54:55], v10, s[sgprSizeI]           // coord0 < size0
v_cmp_lt_u32 s[56:57], v11, s[sgprSizeJ]           // coord1 < size1
s_and_b64 s[56:57], s[54:55], s[56:57]             // in0 && in1
v_mul_lo_u32 v9, v9, s[sgprStrideD1J]              // coord1 element offset =  coord1 * StrideD
_v_add_lshl_u32 v9, v9, v10, 0x0                   // scale to BPE
v_cndmask_b32 v9, -1, v9, s[56:57]                 // clip if OOB. offset
buffer_store_byte v21, v9, s[sgprSrdD:sgprSrdD+3], 0, offen, offset:0 // store D
_v_add_u32 v11, v5, 0                              // coord1 += nColPerLoad
_v_add_u32 v10, v4, 5                              // coord0 += element index of load vector
_v_add_u32 v9, v6, 0                               // offset coord1 += nColPerLoad
v_cmp_lt_u32 s[54:55], v10, s[sgprSizeI]           // coord0 < size0
v_cmp_lt_u32 s[56:57], v11, s[sgprSizeJ]           // coord1 < size1
s_and_b64 s[56:57], s[54:55], s[56:57]             // in0 && in1
v_mul_lo_u32 v9, v9, s[sgprStrideD1J]              // coord1 element offset =  coord1 * StrideD
_v_add_lshl_u32 v9, v9, v10, 0x0                   // scale to BPE
v_cndmask_b32 v9, -1, v9, s[56:57]                 // clip if OOB. offset
v_lshrrev_b32 v17, 8, v21                          // vGWTmp = src >> 8
buffer_store_byte v17, v9, s[sgprSrdD:sgprSrdD+3], 0, offen, offset:0 // store D
_v_add_u32 v11, v5, 0                              // coord1 += nColPerLoad
_v_add_u32 v10, v4, 6                              // coord0 += element index of load vector
_v_add_u32 v9, v6, 0                               // offset coord1 += nColPerLoad
v_cmp_lt_u32 s[54:55], v10, s[sgprSizeI]           // coord0 < size0
v_cmp_lt_u32 s[56:57], v11, s[sgprSizeJ]           // coord1 < size1
s_and_b64 s[56:57], s[54:55], s[56:57]             // in0 && in1
v_mul_lo_u32 v9, v9, s[sgprStrideD1J]              // coord1 element offset =  coord1 * StrideD
_v_add_lshl_u32 v9, v9, v10, 0x0                   // scale to BPE
v_cndmask_b32 v9, -1, v9, s[56:57]                 // clip if OOB. offset
buffer_store_byte_d16_hi v21, v9, s[sgprSrdD:sgprSrdD+3], 0, offen, offset:0 // store D
_v_add_u32 v11, v5, 0                              // coord1 += nColPerLoad
_v_add_u32 v10, v4, 7                              // coord0 += element index of load vector
_v_add_u32 v9, v6, 0                               // offset coord1 += nColPerLoad
v_cmp_lt_u32 s[54:55], v10, s[sgprSizeI]           // coord0 < size0
v_cmp_lt_u32 s[56:57], v11, s[sgprSizeJ]           // coord1 < size1
s_and_b64 s[56:57], s[54:55], s[56:57]             // in0 && in1
v_mul_lo_u32 v9, v9, s[sgprStrideD1J]              // coord1 element offset =  coord1 * StrideD
_v_add_lshl_u32 v9, v9, v10, 0x0                   // scale to BPE
v_cndmask_b32 v9, -1, v9, s[56:57]                 // clip if OOB. offset
v_lshrrev_b32 v17, 8, v21                          // vGWTmp = src >> 8
buffer_store_byte_d16_hi v17, v9, s[sgprSrdD:sgprSrdD+3], 0, offen, offset:0 // store D
_v_add_u32 v11, v5, 0                              // coord1 += nColPerLoad
_v_add_u32 v10, v4, 8                              // coord0 += element index of load vector
_v_add_u32 v9, v6, 0                               // offset coord1 += nColPerLoad
v_cmp_lt_u32 s[54:55], v10, s[sgprSizeI]           // coord0 < size0
v_cmp_lt_u32 s[56:57], v11, s[sgprSizeJ]           // coord1 < size1
s_and_b64 s[56:57], s[54:55], s[56:57]             // in0 && in1
v_mul_lo_u32 v9, v9, s[sgprStrideD1J]              // coord1 element offset =  coord1 * StrideD
_v_add_lshl_u32 v9, v9, v10, 0x0                   // scale to BPE
v_cndmask_b32 v9, -1, v9, s[56:57]                 // clip if OOB. offset
buffer_store_byte v22, v9, s[sgprSrdD:sgprSrdD+3], 0, offen, offset:0 // store D
_v_add_u32 v11, v5, 0                              // coord1 += nColPerLoad
_v_add_u32 v10, v4, 9                              // coord0 += element index of load vector
_v_add_u32 v9, v6, 0                               // offset coord1 += nColPerLoad
v_cmp_lt_u32 s[54:55], v10, s[sgprSizeI]           // coord0 < size0
v_cmp_lt_u32 s[56:57], v11, s[sgprSizeJ]           // coord1 < size1
s_and_b64 s[56:57], s[54:55], s[56:57]             // in0 && in1
v_mul_lo_u32 v9, v9, s[sgprStrideD1J]              // coord1 element offset =  coord1 * StrideD
_v_add_lshl_u32 v9, v9, v10, 0x0                   // scale to BPE
v_cndmask_b32 v9, -1, v9, s[56:57]                 // clip if OOB. offset
v_lshrrev_b32 v17, 8, v22                          // vGWTmp = src >> 8
buffer_store_byte v17, v9, s[sgprSrdD:sgprSrdD+3], 0, offen, offset:0 // store D
_v_add_u32 v11, v5, 0                              // coord1 += nColPerLoad
_v_add_u32 v10, v4, 10                             // coord0 += element index of load vector
_v_add_u32 v9, v6, 0                               // offset coord1 += nColPerLoad
v_cmp_lt_u32 s[54:55], v10, s[sgprSizeI]           // coord0 < size0
v_cmp_lt_u32 s[56:57], v11, s[sgprSizeJ]           // coord1 < size1
s_and_b64 s[56:57], s[54:55], s[56:57]             // in0 && in1
v_mul_lo_u32 v9, v9, s[sgprStrideD1J]              // coord1 element offset =  coord1 * StrideD
_v_add_lshl_u32 v9, v9, v10, 0x0                   // scale to BPE
v_cndmask_b32 v9, -1, v9, s[56:57]                 // clip if OOB. offset
buffer_store_byte_d16_hi v22, v9, s[sgprSrdD:sgprSrdD+3], 0, offen, offset:0 // store D
_v_add_u32 v11, v5, 0                              // coord1 += nColPerLoad
_v_add_u32 v10, v4, 11                             // coord0 += element index of load vector
_v_add_u32 v9, v6, 0                               // offset coord1 += nColPerLoad
v_cmp_lt_u32 s[54:55], v10, s[sgprSizeI]           // coord0 < size0
v_cmp_lt_u32 s[56:57], v11, s[sgprSizeJ]           // coord1 < size1
s_and_b64 s[56:57], s[54:55], s[56:57]             // in0 && in1
v_mul_lo_u32 v9, v9, s[sgprStrideD1J]              // coord1 element offset =  coord1 * StrideD
_v_add_lshl_u32 v9, v9, v10, 0x0                   // scale to BPE
v_cndmask_b32 v9, -1, v9, s[56:57]                 // clip if OOB. offset
v_lshrrev_b32 v17, 8, v22                          // vGWTmp = src >> 8
buffer_store_byte_d16_hi v17, v9, s[sgprSrdD:sgprSrdD+3], 0, offen, offset:0 // store D
_v_add_u32 v11, v5, 0                              // coord1 += nColPerLoad
_v_add_u32 v10, v4, 12                             // coord0 += element index of load vector
_v_add_u32 v9, v6, 0                               // offset coord1 += nColPerLoad
v_cmp_lt_u32 s[54:55], v10, s[sgprSizeI]           // coord0 < size0
v_cmp_lt_u32 s[56:57], v11, s[sgprSizeJ]           // coord1 < size1
s_and_b64 s[56:57], s[54:55], s[56:57]             // in0 && in1
v_mul_lo_u32 v9, v9, s[sgprStrideD1J]              // coord1 element offset =  coord1 * StrideD
_v_add_lshl_u32 v9, v9, v10, 0x0                   // scale to BPE
v_cndmask_b32 v9, -1, v9, s[56:57]                 // clip if OOB. offset
buffer_store_byte v23, v9, s[sgprSrdD:sgprSrdD+3], 0, offen, offset:0 // store D
_v_add_u32 v11, v5, 0                              // coord1 += nColPerLoad
_v_add_u32 v10, v4, 13                             // coord0 += element index of load vector
_v_add_u32 v9, v6, 0                               // offset coord1 += nColPerLoad
v_cmp_lt_u32 s[54:55], v10, s[sgprSizeI]           // coord0 < size0
v_cmp_lt_u32 s[56:57], v11, s[sgprSizeJ]           // coord1 < size1
s_and_b64 s[56:57], s[54:55], s[56:57]             // in0 && in1
v_mul_lo_u32 v9, v9, s[sgprStrideD1J]              // coord1 element offset =  coord1 * StrideD
_v_add_lshl_u32 v9, v9, v10, 0x0                   // scale to BPE
v_cndmask_b32 v9, -1, v9, s[56:57]                 // clip if OOB. offset
v_lshrrev_b32 v17, 8, v23                          // vGWTmp = src >> 8
buffer_store_byte v17, v9, s[sgprSrdD:sgprSrdD+3], 0, offen, offset:0 // store D
_v_add_u32 v11, v5, 0                              // coord1 += nColPerLoad
_v_add_u32 v10, v4, 14                             // coord0 += element index of load vector
_v_add_u32 v9, v6, 0                               // offset coord1 += nColPerLoad
v_cmp_lt_u32 s[54:55], v10, s[sgprSizeI]           // coord0 < size0
v_cmp_lt_u32 s[56:57], v11, s[sgprSizeJ]           // coord1 < size1
s_and_b64 s[56:57], s[54:55], s[56:57]             // in0 && in1
v_mul_lo_u32 v9, v9, s[sgprStrideD1J]              // coord1 element offset =  coord1 * StrideD
_v_add_lshl_u32 v9, v9, v10, 0x0                   // scale to BPE
v_cndmask_b32 v9, -1, v9, s[56:57]                 // clip if OOB. offset
buffer_store_byte_d16_hi v23, v9, s[sgprSrdD:sgprSrdD+3], 0, offen, offset:0 // store D
_v_add_u32 v11, v5, 0                              // coord1 += nColPerLoad
_v_add_u32 v10, v4, 15                             // coord0 += element index of load vector
_v_add_u32 v9, v6, 0                               // offset coord1 += nColPerLoad
v_cmp_lt_u32 s[54:55], v10, s[sgprSizeI]           // coord0 < size0
v_cmp_lt_u32 s[56:57], v11, s[sgprSizeJ]           // coord1 < size1
s_and_b64 s[56:57], s[54:55], s[56:57]             // in0 && in1
v_mul_lo_u32 v9, v9, s[sgprStrideD1J]              // coord1 element offset =  coord1 * StrideD
_v_add_lshl_u32 v9, v9, v10, 0x0                   // scale to BPE
v_cndmask_b32 v9, -1, v9, s[56:57]                 // clip if OOB. offset
v_lshrrev_b32 v17, 8, v23                          // vGWTmp = src >> 8
buffer_store_byte_d16_hi v17, v9, s[sgprSrdD:sgprSrdD+3], 0, offen, offset:0 // store D
s_waitcnt lgkmcnt(0)                               // wait for LDS read
_v_add_u32 v11, v5, 4                              // coord1 += nColPerLoad
_v_add_u32 v10, v4, 0                              // coord0 += element index of load vector
_v_add_u32 v9, v6, 4                               // offset coord1 += nColPerLoad
v_cmp_lt_u32 s[54:55], v10, s[sgprSizeI]           // coord0 < size0
v_cmp_lt_u32 s[56:57], v11, s[sgprSizeJ]           // coord1 < size1
s_and_b64 s[56:57], s[54:55], s[56:57]             // in0 && in1
v_mul_lo_u32 v9, v9, s[sgprStrideD1J]              // coord1 element offset =  coord1 * StrideD
_v_add_lshl_u32 v9, v9, v10, 0x0                   // scale to BPE
v_cndmask_b32 v9, -1, v9, s[56:57]                 // clip if OOB. offset
buffer_store_byte v24, v9, s[sgprSrdD:sgprSrdD+3], 0, offen, offset:0 // store D
_v_add_u32 v11, v5, 4                              // coord1 += nColPerLoad
_v_add_u32 v10, v4, 1                              // coord0 += element index of load vector
_v_add_u32 v9, v6, 4                               // offset coord1 += nColPerLoad
v_cmp_lt_u32 s[54:55], v10, s[sgprSizeI]           // coord0 < size0
v_cmp_lt_u32 s[56:57], v11, s[sgprSizeJ]           // coord1 < size1
s_and_b64 s[56:57], s[54:55], s[56:57]             // in0 && in1
v_mul_lo_u32 v9, v9, s[sgprStrideD1J]              // coord1 element offset =  coord1 * StrideD
_v_add_lshl_u32 v9, v9, v10, 0x0                   // scale to BPE
v_cndmask_b32 v9, -1, v9, s[56:57]                 // clip if OOB. offset
v_lshrrev_b32 v17, 8, v24                          // vGWTmp = src >> 8
buffer_store_byte v17, v9, s[sgprSrdD:sgprSrdD+3], 0, offen, offset:0 // store D
_v_add_u32 v11, v5, 4                              // coord1 += nColPerLoad
_v_add_u32 v10, v4, 2                              // coord0 += element index of load vector
_v_add_u32 v9, v6, 4                               // offset coord1 += nColPerLoad
v_cmp_lt_u32 s[54:55], v10, s[sgprSizeI]           // coord0 < size0
v_cmp_lt_u32 s[56:57], v11, s[sgprSizeJ]           // coord1 < size1
s_and_b64 s[56:57], s[54:55], s[56:57]             // in0 && in1
v_mul_lo_u32 v9, v9, s[sgprStrideD1J]              // coord1 element offset =  coord1 * StrideD
_v_add_lshl_u32 v9, v9, v10, 0x0                   // scale to BPE
v_cndmask_b32 v9, -1, v9, s[56:57]                 // clip if OOB. offset
buffer_store_byte_d16_hi v24, v9, s[sgprSrdD:sgprSrdD+3], 0, offen, offset:0 // store D
_v_add_u32 v11, v5, 4                              // coord1 += nColPerLoad
_v_add_u32 v10, v4, 3                              // coord0 += element index of load vector
_v_add_u32 v9, v6, 4                               // offset coord1 += nColPerLoad
v_cmp_lt_u32 s[54:55], v10, s[sgprSizeI]           // coord0 < size0
v_cmp_lt_u32 s[56:57], v11, s[sgprSizeJ]           // coord1 < size1
s_and_b64 s[56:57], s[54:55], s[56:57]             // in0 && in1
v_mul_lo_u32 v9, v9, s[sgprStrideD1J]              // coord1 element offset =  coord1 * StrideD
_v_add_lshl_u32 v9, v9, v10, 0x0                   // scale to BPE
v_cndmask_b32 v9, -1, v9, s[56:57]                 // clip if OOB. offset
v_lshrrev_b32 v17, 8, v24                          // vGWTmp = src >> 8
buffer_store_byte_d16_hi v17, v9, s[sgprSrdD:sgprSrdD+3], 0, offen, offset:0 // store D
_v_add_u32 v11, v5, 4                              // coord1 += nColPerLoad
_v_add_u32 v10, v4, 4                              // coord0 += element index of load vector
_v_add_u32 v9, v6, 4                               // offset coord1 += nColPerLoad
v_cmp_lt_u32 s[54:55], v10, s[sgprSizeI]           // coord0 < size0
v_cmp_lt_u32 s[56:57], v11, s[sgprSizeJ]           // coord1 < size1
s_and_b64 s[56:57], s[54:55], s[56:57]             // in0 && in1
v_mul_lo_u32 v9, v9, s[sgprStrideD1J]              // coord1 element offset =  coord1 * StrideD
_v_add_lshl_u32 v9, v9, v10, 0x0                   // scale to BPE
v_cndmask_b32 v9, -1, v9, s[56:57]                 // clip if OOB. offset
buffer_store_byte v25, v9, s[sgprSrdD:sgprSrdD+3], 0, offen, offset:0 // store D
_v_add_u32 v11, v5, 4                              // coord1 += nColPerLoad
_v_add_u32 v10, v4, 5                              // coord0 += element index of load vector
_v_add_u32 v9, v6, 4                               // offset coord1 += nColPerLoad
v_cmp_lt_u32 s[54:55], v10, s[sgprSizeI]           // coord0 < size0
v_cmp_lt_u32 s[56:57], v11, s[sgprSizeJ]           // coord1 < size1
s_and_b64 s[56:57], s[54:55], s[56:57]             // in0 && in1
v_mul_lo_u32 v9, v9, s[sgprStrideD1J]              // coord1 element offset =  coord1 * StrideD
_v_add_lshl_u32 v9, v9, v10, 0x0                   // scale to BPE
v_cndmask_b32 v9, -1, v9, s[56:57]                 // clip if OOB. offset
v_lshrrev_b32 v17, 8, v25                          // vGWTmp = src >> 8
buffer_store_byte v17, v9, s[sgprSrdD:sgprSrdD+3], 0, offen, offset:0 // store D
_v_add_u32 v11, v5, 4                              // coord1 += nColPerLoad
_v_add_u32 v10, v4, 6                              // coord0 += element index of load vector
_v_add_u32 v9, v6, 4                               // offset coord1 += nColPerLoad
v_cmp_lt_u32 s[54:55], v10, s[sgprSizeI]           // coord0 < size0
v_cmp_lt_u32 s[56:57], v11, s[sgprSizeJ]           // coord1 < size1
s_and_b64 s[56:57], s[54:55], s[56:57]             // in0 && in1
v_mul_lo_u32 v9, v9, s[sgprStrideD1J]              // coord1 element offset =  coord1 * StrideD
_v_add_lshl_u32 v9, v9, v10, 0x0                   // scale to BPE
v_cndmask_b32 v9, -1, v9, s[56:57]                 // clip if OOB. offset
buffer_store_byte_d16_hi v25, v9, s[sgprSrdD:sgprSrdD+3], 0, offen, offset:0 // store D
_v_add_u32 v11, v5, 4                              // coord1 += nColPerLoad
_v_add_u32 v10, v4, 7                              // coord0 += element index of load vector
_v_add_u32 v9, v6, 4                               // offset coord1 += nColPerLoad
v_cmp_lt_u32 s[54:55], v10, s[sgprSizeI]           // coord0 < size0
v_cmp_lt_u32 s[56:57], v11, s[sgprSizeJ]           // coord1 < size1
s_and_b64 s[56:57], s[54:55], s[56:57]             // in0 && in1
v_mul_lo_u32 v9, v9, s[sgprStrideD1J]              // coord1 element offset =  coord1 * StrideD
_v_add_lshl_u32 v9, v9, v10, 0x0                   // scale to BPE
v_cndmask_b32 v9, -1, v9, s[56:57]                 // clip if OOB. offset
v_lshrrev_b32 v17, 8, v25                          // vGWTmp = src >> 8
buffer_store_byte_d16_hi v17, v9, s[sgprSrdD:sgprSrdD+3], 0, offen, offset:0 // store D
_v_add_u32 v11, v5, 4                              // coord1 += nColPerLoad
_v_add_u32 v10, v4, 8                              // coord0 += element index of load vector
_v_add_u32 v9, v6, 4                               // offset coord1 += nColPerLoad
v_cmp_lt_u32 s[54:55], v10, s[sgprSizeI]           // coord0 < size0
v_cmp_lt_u32 s[56:57], v11, s[sgprSizeJ]           // coord1 < size1
s_and_b64 s[56:57], s[54:55], s[56:57]             // in0 && in1
v_mul_lo_u32 v9, v9, s[sgprStrideD1J]              // coord1 element offset =  coord1 * StrideD
_v_add_lshl_u32 v9, v9, v10, 0x0                   // scale to BPE
v_cndmask_b32 v9, -1, v9, s[56:57]                 // clip if OOB. offset
buffer_store_byte v26, v9, s[sgprSrdD:sgprSrdD+3], 0, offen, offset:0 // store D
_v_add_u32 v11, v5, 4                              // coord1 += nColPerLoad
_v_add_u32 v10, v4, 9                              // coord0 += element index of load vector
_v_add_u32 v9, v6, 4                               // offset coord1 += nColPerLoad
v_cmp_lt_u32 s[54:55], v10, s[sgprSizeI]           // coord0 < size0
v_cmp_lt_u32 s[56:57], v11, s[sgprSizeJ]           // coord1 < size1
s_and_b64 s[56:57], s[54:55], s[56:57]             // in0 && in1
v_mul_lo_u32 v9, v9, s[sgprStrideD1J]              // coord1 element offset =  coord1 * StrideD
_v_add_lshl_u32 v9, v9, v10, 0x0                   // scale to BPE
v_cndmask_b32 v9, -1, v9, s[56:57]                 // clip if OOB. offset
v_lshrrev_b32 v17, 8, v26                          // vGWTmp = src >> 8
buffer_store_byte v17, v9, s[sgprSrdD:sgprSrdD+3], 0, offen, offset:0 // store D
_v_add_u32 v11, v5, 4                              // coord1 += nColPerLoad
_v_add_u32 v10, v4, 10                             // coord0 += element index of load vector
_v_add_u32 v9, v6, 4                               // offset coord1 += nColPerLoad
v_cmp_lt_u32 s[54:55], v10, s[sgprSizeI]           // coord0 < size0
v_cmp_lt_u32 s[56:57], v11, s[sgprSizeJ]           // coord1 < size1
s_and_b64 s[56:57], s[54:55], s[56:57]             // in0 && in1
v_mul_lo_u32 v9, v9, s[sgprStrideD1J]              // coord1 element offset =  coord1 * StrideD
_v_add_lshl_u32 v9, v9, v10, 0x0                   // scale to BPE
v_cndmask_b32 v9, -1, v9, s[56:57]                 // clip if OOB. offset
buffer_store_byte_d16_hi v26, v9, s[sgprSrdD:sgprSrdD+3], 0, offen, offset:0 // store D
_v_add_u32 v11, v5, 4                              // coord1 += nColPerLoad
_v_add_u32 v10, v4, 11                             // coord0 += element index of load vector
_v_add_u32 v9, v6, 4                               // offset coord1 += nColPerLoad
v_cmp_lt_u32 s[54:55], v10, s[sgprSizeI]           // coord0 < size0
v_cmp_lt_u32 s[56:57], v11, s[sgprSizeJ]           // coord1 < size1
s_and_b64 s[56:57], s[54:55], s[56:57]             // in0 && in1
v_mul_lo_u32 v9, v9, s[sgprStrideD1J]              // coord1 element offset =  coord1 * StrideD
_v_add_lshl_u32 v9, v9, v10, 0x0                   // scale to BPE
v_cndmask_b32 v9, -1, v9, s[56:57]                 // clip if OOB. offset
v_lshrrev_b32 v17, 8, v26                          // vGWTmp = src >> 8
buffer_store_byte_d16_hi v17, v9, s[sgprSrdD:sgprSrdD+3], 0, offen, offset:0 // store D
_v_add_u32 v11, v5, 4                              // coord1 += nColPerLoad
_v_add_u32 v10, v4, 12                             // coord0 += element index of load vector
_v_add_u32 v9, v6, 4                               // offset coord1 += nColPerLoad
v_cmp_lt_u32 s[54:55], v10, s[sgprSizeI]           // coord0 < size0
v_cmp_lt_u32 s[56:57], v11, s[sgprSizeJ]           // coord1 < size1
s_and_b64 s[56:57], s[54:55], s[56:57]             // in0 && in1
v_mul_lo_u32 v9, v9, s[sgprStrideD1J]              // coord1 element offset =  coord1 * StrideD
_v_add_lshl_u32 v9, v9, v10, 0x0                   // scale to BPE
v_cndmask_b32 v9, -1, v9, s[56:57]                 // clip if OOB. offset
buffer_store_byte v27, v9, s[sgprSrdD:sgprSrdD+3], 0, offen, offset:0 // store D
_v_add_u32 v11, v5, 4                              // coord1 += nColPerLoad
_v_add_u32 v10, v4, 13                             // coord0 += element index of load vector
_v_add_u32 v9, v6, 4                               // offset coord1 += nColPerLoad
v_cmp_lt_u32 s[54:55], v10, s[sgprSizeI]           // coord0 < size0
v_cmp_lt_u32 s[56:57], v11, s[sgprSizeJ]           // coord1 < size1
s_and_b64 s[56:57], s[54:55], s[56:57]             // in0 && in1
v_mul_lo_u32 v9, v9, s[sgprStrideD1J]              // coord1 element offset =  coord1 * StrideD
_v_add_lshl_u32 v9, v9, v10, 0x0                   // scale to BPE
v_cndmask_b32 v9, -1, v9, s[56:57]                 // clip if OOB. offset
v_lshrrev_b32 v17, 8, v27                          // vGWTmp = src >> 8
buffer_store_byte v17, v9, s[sgprSrdD:sgprSrdD+3], 0, offen, offset:0 // store D
_v_add_u32 v11, v5, 4                              // coord1 += nColPerLoad
_v_add_u32 v10, v4, 14                             // coord0 += element index of load vector
_v_add_u32 v9, v6, 4                               // offset coord1 += nColPerLoad
v_cmp_lt_u32 s[54:55], v10, s[sgprSizeI]           // coord0 < size0
v_cmp_lt_u32 s[56:57], v11, s[sgprSizeJ]           // coord1 < size1
s_and_b64 s[56:57], s[54:55], s[56:57]             // in0 && in1
v_mul_lo_u32 v9, v9, s[sgprStrideD1J]              // coord1 element offset =  coord1 * StrideD
_v_add_lshl_u32 v9, v9, v10, 0x0                   // scale to BPE
v_cndmask_b32 v9, -1, v9, s[56:57]                 // clip if OOB. offset
buffer_store_byte_d16_hi v27, v9, s[sgprSrdD:sgprSrdD+3], 0, offen, offset:0 // store D
_v_add_u32 v11, v5, 4                              // coord1 += nColPerLoad
_v_add_u32 v10, v4, 15                             // coord0 += element index of load vector
_v_add_u32 v9, v6, 4                               // offset coord1 += nColPerLoad
v_cmp_lt_u32 s[54:55], v10, s[sgprSizeI]           // coord0 < size0
v_cmp_lt_u32 s[56:57], v11, s[sgprSizeJ]           // coord1 < size1
s_and_b64 s[56:57], s[54:55], s[56:57]             // in0 && in1
v_mul_lo_u32 v9, v9, s[sgprStrideD1J]              // coord1 element offset =  coord1 * StrideD
_v_add_lshl_u32 v9, v9, v10, 0x0                   // scale to BPE
v_cndmask_b32 v9, -1, v9, s[56:57]                 // clip if OOB. offset
v_lshrrev_b32 v17, 8, v27                          // vGWTmp = src >> 8
buffer_store_byte_d16_hi v17, v9, s[sgprSrdD:sgprSrdD+3], 0, offen, offset:0 // store D

s_barrier //wait all lds read finished
s_nop 0                                            // 1 wait state required when next inst writes vgprs held by previous dwordx4 store inst
/* optSingleColVgpr=0 optSharedColVgpr=0 optSGPRUsage=BufferLoad_Edge_Mask optSrdIncForRow=1 */

/******************************************/
/* Global Write Alpha Edge Batch #3 (d1,d0,vc1,vc0) = */
/*    (3,0,0,0:vw4); (3,1,0,0:vw4); (3,2,0,0:vw4); (3,3,0,0:vw4); (3,4,0,0:vw4); (3,5,0,0:vw4); (3,6,0,0:vw4); (3,7,0,0:vw4) */
/******************************************/

/* calc coords, apply mask, and issue loads (if necessary) */
/* (d1,vc1,d0,vc0)=(3,0,0,0) */
_v_add_co_u32 v1, vcc, v1, 32                      // coord1.1: coord1Vgpr += d1*sg1*VW + vc1
_v_add_lshl_u32 v9, v3, v0, 0x0                    // scaleToBpe: accumulate d0 lower and *= bpe into Cin addr
/* (d1,vc1,d0,vc0)=(3,0,1,0) */
_v_add_co_u32 v10, vcc, v0, 8                      // coord0.1: coord0 += d0*sg0*VW + vc0
_v_add_lshl_u32 v17, v3, v10, 0x0                  // scaleToBpe: accumulate d0 lower and *= bpe into Cin addr
/* (d1,vc1,d0,vc0)=(3,0,2,0) */
_v_add_co_u32 v10, vcc, v0, 16                     // coord0.1: coord0 += d0*sg0*VW + vc0
_v_add_lshl_u32 v18, v3, v10, 0x0                  // scaleToBpe: accumulate d0 lower and *= bpe into Cin addr
/* (d1,vc1,d0,vc0)=(3,0,3,0) */
_v_add_co_u32 v10, vcc, v0, 24                     // coord0.1: coord0 += d0*sg0*VW + vc0
_v_add_lshl_u32 v19, v3, v10, 0x0                  // scaleToBpe: accumulate d0 lower and *= bpe into Cin addr
/* (d1,vc1,d0,vc0)=(3,0,4,0) */
s_mov_b32 s54, 128                                 // coordOffset0 d0=4 vc0=0
_v_add_co_u32 v10, vcc, v0, s54                    // coord0.2: coord0 += d0*sg0*VW + vc0
_v_add_lshl_u32 v36, v3, v10, 0x0                  // scaleToBpe: accumulate d0 lower and *= bpe into Cin addr
/* (d1,vc1,d0,vc0)=(3,0,5,0) */
s_mov_b32 s54, 136                                 // coordOffset0 d0=5 vc0=0
_v_add_co_u32 v10, vcc, v0, s54                    // coord0.2: coord0 += d0*sg0*VW + vc0
	;; [unrolled: 4-line block ×4, first 2 shown]
_v_add_lshl_u32 v39, v3, v10, 0x0                  // scaleToBpe: accumulate d0 lower and *= bpe into Cin addr
v_accvgpr_read_b32 v[vgprValuC+20], acc96 // copy acc to vreg[96]
v_accvgpr_read_b32 v[vgprValuC+21], acc97 // copy acc to vreg[97]
v_accvgpr_read_b32 v[vgprValuC+22], acc98 // copy acc to vreg[98]
v_accvgpr_read_b32 v[vgprValuC+23], acc99 // copy acc to vreg[99]
v_accvgpr_read_b32 v[vgprValuC+24], acc100 // copy acc to vreg[100]
v_accvgpr_read_b32 v[vgprValuC+25], acc101 // copy acc to vreg[101]
v_accvgpr_read_b32 v[vgprValuC+26], acc102 // copy acc to vreg[102]
v_accvgpr_read_b32 v[vgprValuC+27], acc103 // copy acc to vreg[103]
v_accvgpr_read_b32 v[vgprValuC+28], acc104 // copy acc to vreg[104]
v_accvgpr_read_b32 v[vgprValuC+29], acc105 // copy acc to vreg[105]
v_accvgpr_read_b32 v[vgprValuC+30], acc106 // copy acc to vreg[106]
v_accvgpr_read_b32 v[vgprValuC+31], acc107 // copy acc to vreg[107]
v_accvgpr_read_b32 v[vgprValuC+32], acc108 // copy acc to vreg[108]
v_accvgpr_read_b32 v[vgprValuC+33], acc109 // copy acc to vreg[109]
v_accvgpr_read_b32 v[vgprValuC+34], acc110 // copy acc to vreg[110]
v_accvgpr_read_b32 v[vgprValuC+35], acc111 // copy acc to vreg[111]
v_accvgpr_read_b32 v[vgprValuC+40], acc112 // copy acc to vreg[112]
v_accvgpr_read_b32 v[vgprValuC+41], acc113 // copy acc to vreg[113]
v_accvgpr_read_b32 v[vgprValuC+42], acc114 // copy acc to vreg[114]
v_accvgpr_read_b32 v[vgprValuC+43], acc115 // copy acc to vreg[115]
v_accvgpr_read_b32 v[vgprValuC+44], acc116 // copy acc to vreg[116]
v_accvgpr_read_b32 v[vgprValuC+45], acc117 // copy acc to vreg[117]
v_accvgpr_read_b32 v[vgprValuC+46], acc118 // copy acc to vreg[118]
v_accvgpr_read_b32 v[vgprValuC+47], acc119 // copy acc to vreg[119]
v_accvgpr_read_b32 v[vgprValuC+48], acc120 // copy acc to vreg[120]
v_accvgpr_read_b32 v[vgprValuC+49], acc121 // copy acc to vreg[121]
v_accvgpr_read_b32 v[vgprValuC+50], acc122 // copy acc to vreg[122]
v_accvgpr_read_b32 v[vgprValuC+51], acc123 // copy acc to vreg[123]
v_accvgpr_read_b32 v[vgprValuC+52], acc124 // copy acc to vreg[124]
v_accvgpr_read_b32 v[vgprValuC+53], acc125 // copy acc to vreg[125]
v_accvgpr_read_b32 v[vgprValuC+54], acc126 // copy acc to vreg[126]
v_accvgpr_read_b32 v[vgprValuC+55], acc127 // copy acc to vreg[127]
s_nop 1                                            // 2 wait states required before reading vgpr

/* rC *= alpha batchElements=[(3, 0, 0, 0), (3, 1, 0, 0), (3, 2, 0, 0), (3, 3, 0, 0), (3, 4, 0, 0), (3, 5, 0, 0), (3, 6, 0, 0), (3, 7, 0, 0)] */
v_mul_f32 v[vgprValuC+20], s[sgprAlpha], v[vgprValuC+20] // *= alpha
v_mul_f32 v[vgprValuC+21], s[sgprAlpha], v[vgprValuC+21] // *= alpha
v_mul_f32 v[vgprValuC+22], s[sgprAlpha], v[vgprValuC+22] // *= alpha
v_mul_f32 v[vgprValuC+23], s[sgprAlpha], v[vgprValuC+23] // *= alpha
v_mul_f32 v[vgprValuC+24], s[sgprAlpha], v[vgprValuC+24] // *= alpha
v_mul_f32 v[vgprValuC+25], s[sgprAlpha], v[vgprValuC+25] // *= alpha
v_mul_f32 v[vgprValuC+26], s[sgprAlpha], v[vgprValuC+26] // *= alpha
v_mul_f32 v[vgprValuC+27], s[sgprAlpha], v[vgprValuC+27] // *= alpha
v_mul_f32 v[vgprValuC+28], s[sgprAlpha], v[vgprValuC+28] // *= alpha
v_mul_f32 v[vgprValuC+29], s[sgprAlpha], v[vgprValuC+29] // *= alpha
v_mul_f32 v[vgprValuC+30], s[sgprAlpha], v[vgprValuC+30] // *= alpha
v_mul_f32 v[vgprValuC+31], s[sgprAlpha], v[vgprValuC+31] // *= alpha
v_mul_f32 v[vgprValuC+32], s[sgprAlpha], v[vgprValuC+32] // *= alpha
v_mul_f32 v[vgprValuC+33], s[sgprAlpha], v[vgprValuC+33] // *= alpha
v_mul_f32 v[vgprValuC+34], s[sgprAlpha], v[vgprValuC+34] // *= alpha
v_mul_f32 v[vgprValuC+35], s[sgprAlpha], v[vgprValuC+35] // *= alpha
v_mul_f32 v[vgprValuC+40], s[sgprAlpha], v[vgprValuC+40] // *= alpha
v_mul_f32 v[vgprValuC+41], s[sgprAlpha], v[vgprValuC+41] // *= alpha
v_mul_f32 v[vgprValuC+42], s[sgprAlpha], v[vgprValuC+42] // *= alpha
v_mul_f32 v[vgprValuC+43], s[sgprAlpha], v[vgprValuC+43] // *= alpha
v_mul_f32 v[vgprValuC+44], s[sgprAlpha], v[vgprValuC+44] // *= alpha
v_mul_f32 v[vgprValuC+45], s[sgprAlpha], v[vgprValuC+45] // *= alpha
v_mul_f32 v[vgprValuC+46], s[sgprAlpha], v[vgprValuC+46] // *= alpha
v_mul_f32 v[vgprValuC+47], s[sgprAlpha], v[vgprValuC+47] // *= alpha
v_mul_f32 v[vgprValuC+48], s[sgprAlpha], v[vgprValuC+48] // *= alpha
v_mul_f32 v[vgprValuC+49], s[sgprAlpha], v[vgprValuC+49] // *= alpha
v_mul_f32 v[vgprValuC+50], s[sgprAlpha], v[vgprValuC+50] // *= alpha
v_mul_f32 v[vgprValuC+51], s[sgprAlpha], v[vgprValuC+51] // *= alpha
v_mul_f32 v[vgprValuC+52], s[sgprAlpha], v[vgprValuC+52] // *= alpha
v_mul_f32 v[vgprValuC+53], s[sgprAlpha], v[vgprValuC+53] // *= alpha
v_mul_f32 v[vgprValuC+54], s[sgprAlpha], v[vgprValuC+54] // *= alpha
v_mul_f32 v[vgprValuC+55], s[sgprAlpha], v[vgprValuC+55] // *= alpha

/* apply mask, calc new C and issue writes */
v_mov_b32 v16, 0x207                               // flag for Nan and +/- inf
v_mov_b32 v14, 0x43700000                          // save 240.0f as max for clipping
v_mov_b32 v15, 0xC3700000                          // save -240.0f as min for clipping

/* StoreRemap: shift coord1 address */
s_mul_i32 s54, s[sgprStrideD1J], 32                // scale StrideD *= numRows(32) * bpe
s_add_u32  s[sgprSrdD+0], s[sgprSrdD+0], s54       // incToNextRow: gra SRD += inc(lower)
s_addc_u32  s[sgprSrdD+1], s[sgprSrdD+1], 0        // incToNextRow: gra SRD += inc(upper)
v_mov_b32 v10, 32                                  // set shift rows
_v_add_u32 v5, v5, v10                             // shift storeRemap coord1
v_cmp_class_f32 s[54:55], v[vgprValuC+20], v16     // check NaN and +/-INF
v_med3_f32 v12, v[vgprValuC+20], v14, v15          // Clipping f32 value if exceeds the limit
v_cndmask_b32 v12, v12, v[vgprValuC+20], s[54:55]  // 
v_cmp_class_f32 s[54:55], v[vgprValuC+21], v16     // check NaN and +/-INF
v_med3_f32 v13, v[vgprValuC+21], v14, v15          // Clipping f32 value if exceeds the limit
v_cndmask_b32 v13, v13, v[vgprValuC+21], s[54:55]  // 
v_cvt_pk_fp8_f32  v20, v12, v13 op_sel:[0,0,0]     // convert two f32 accumulated values to fp8 and save it to lo_16[0:15]
v_cmp_class_f32 s[54:55], v[vgprValuC+22], v16     // check NaN and +/-INF
v_med3_f32 v12, v[vgprValuC+22], v14, v15          // Clipping f32 value if exceeds the limit
v_cndmask_b32 v12, v12, v[vgprValuC+22], s[54:55]  // 
v_cmp_class_f32 s[54:55], v[vgprValuC+23], v16     // check NaN and +/-INF
v_med3_f32 v13, v[vgprValuC+23], v14, v15          // Clipping f32 value if exceeds the limit
v_cndmask_b32 v13, v13, v[vgprValuC+23], s[54:55]  // 
v_cvt_pk_fp8_f32  v20, v12, v13 op_sel:[0,0,1]     // convert two f32 accumulated values to fp8 and save it to hi_16[16:31]
_ds_store_b32 v7, v20, offset:0                    // storeRemap lw
v_cmp_class_f32 s[54:55], v[vgprValuC+24], v16     // check NaN and +/-INF
v_med3_f32 v12, v[vgprValuC+24], v14, v15          // Clipping f32 value if exceeds the limit
v_cndmask_b32 v12, v12, v[vgprValuC+24], s[54:55]  // 
v_cmp_class_f32 s[54:55], v[vgprValuC+25], v16     // check NaN and +/-INF
v_med3_f32 v13, v[vgprValuC+25], v14, v15          // Clipping f32 value if exceeds the limit
v_cndmask_b32 v13, v13, v[vgprValuC+25], s[54:55]  // 
v_cvt_pk_fp8_f32  v24, v12, v13 op_sel:[0,0,0]     // convert two f32 accumulated values to fp8 and save it to lo_16[0:15]
v_cmp_class_f32 s[54:55], v[vgprValuC+26], v16     // check NaN and +/-INF
v_med3_f32 v12, v[vgprValuC+26], v14, v15          // Clipping f32 value if exceeds the limit
v_cndmask_b32 v12, v12, v[vgprValuC+26], s[54:55]  // 
v_cmp_class_f32 s[54:55], v[vgprValuC+27], v16     // check NaN and +/-INF
v_med3_f32 v13, v[vgprValuC+27], v14, v15          // Clipping f32 value if exceeds the limit
v_cndmask_b32 v13, v13, v[vgprValuC+27], s[54:55]  // 
v_cvt_pk_fp8_f32  v24, v12, v13 op_sel:[0,0,1]     // convert two f32 accumulated values to fp8 and save it to hi_16[16:31]
_ds_store_b32 v7, v24, offset:8                    // storeRemap lw
v_cmp_class_f32 s[54:55], v[vgprValuC+28], v16     // check NaN and +/-INF
v_med3_f32 v12, v[vgprValuC+28], v14, v15          // Clipping f32 value if exceeds the limit
v_cndmask_b32 v12, v12, v[vgprValuC+28], s[54:55]  // 
v_cmp_class_f32 s[54:55], v[vgprValuC+29], v16     // check NaN and +/-INF
v_med3_f32 v13, v[vgprValuC+29], v14, v15          // Clipping f32 value if exceeds the limit
v_cndmask_b32 v13, v13, v[vgprValuC+29], s[54:55]  // 
v_cvt_pk_fp8_f32  v28, v12, v13 op_sel:[0,0,0]     // convert two f32 accumulated values to fp8 and save it to lo_16[0:15]
v_cmp_class_f32 s[54:55], v[vgprValuC+30], v16     // check NaN and +/-INF
v_med3_f32 v12, v[vgprValuC+30], v14, v15          // Clipping f32 value if exceeds the limit
v_cndmask_b32 v12, v12, v[vgprValuC+30], s[54:55]  // 
v_cmp_class_f32 s[54:55], v[vgprValuC+31], v16     // check NaN and +/-INF
v_med3_f32 v13, v[vgprValuC+31], v14, v15          // Clipping f32 value if exceeds the limit
v_cndmask_b32 v13, v13, v[vgprValuC+31], s[54:55]  // 
v_cvt_pk_fp8_f32  v28, v12, v13 op_sel:[0,0,1]     // convert two f32 accumulated values to fp8 and save it to hi_16[16:31]
_ds_store_b32 v7, v28, offset:16                   // storeRemap lw
v_cmp_class_f32 s[54:55], v[vgprValuC+32], v16     // check NaN and +/-INF
v_med3_f32 v12, v[vgprValuC+32], v14, v15          // Clipping f32 value if exceeds the limit
v_cndmask_b32 v12, v12, v[vgprValuC+32], s[54:55]  // 
v_cmp_class_f32 s[54:55], v[vgprValuC+33], v16     // check NaN and +/-INF
v_med3_f32 v13, v[vgprValuC+33], v14, v15          // Clipping f32 value if exceeds the limit
v_cndmask_b32 v13, v13, v[vgprValuC+33], s[54:55]  // 
v_cvt_pk_fp8_f32  v32, v12, v13 op_sel:[0,0,0]     // convert two f32 accumulated values to fp8 and save it to lo_16[0:15]
v_cmp_class_f32 s[54:55], v[vgprValuC+34], v16     // check NaN and +/-INF
v_med3_f32 v12, v[vgprValuC+34], v14, v15          // Clipping f32 value if exceeds the limit
v_cndmask_b32 v12, v12, v[vgprValuC+34], s[54:55]  // 
v_cmp_class_f32 s[54:55], v[vgprValuC+35], v16     // check NaN and +/-INF
v_med3_f32 v13, v[vgprValuC+35], v14, v15          // Clipping f32 value if exceeds the limit
v_cndmask_b32 v13, v13, v[vgprValuC+35], s[54:55]  // 
v_cvt_pk_fp8_f32  v32, v12, v13 op_sel:[0,0,1]     // convert two f32 accumulated values to fp8 and save it to hi_16[16:31]
_ds_store_b32 v7, v32, offset:24                   // storeRemap lw
v_cmp_class_f32 s[54:55], v[vgprValuC+40], v16     // check NaN and +/-INF
v_med3_f32 v12, v[vgprValuC+40], v14, v15          // Clipping f32 value if exceeds the limit
v_cndmask_b32 v12, v12, v[vgprValuC+40], s[54:55]  // 
v_cmp_class_f32 s[54:55], v[vgprValuC+41], v16     // check NaN and +/-INF
v_med3_f32 v13, v[vgprValuC+41], v14, v15          // Clipping f32 value if exceeds the limit
v_cndmask_b32 v13, v13, v[vgprValuC+41], s[54:55]  // 
v_cvt_pk_fp8_f32  v40, v12, v13 op_sel:[0,0,0]     // convert two f32 accumulated values to fp8 and save it to lo_16[0:15]
v_cmp_class_f32 s[54:55], v[vgprValuC+42], v16     // check NaN and +/-INF
v_med3_f32 v12, v[vgprValuC+42], v14, v15          // Clipping f32 value if exceeds the limit
v_cndmask_b32 v12, v12, v[vgprValuC+42], s[54:55]  // 
v_cmp_class_f32 s[54:55], v[vgprValuC+43], v16     // check NaN and +/-INF
v_med3_f32 v13, v[vgprValuC+43], v14, v15          // Clipping f32 value if exceeds the limit
v_cndmask_b32 v13, v13, v[vgprValuC+43], s[54:55]  // 
v_cvt_pk_fp8_f32  v40, v12, v13 op_sel:[0,0,1]     // convert two f32 accumulated values to fp8 and save it to hi_16[16:31]
_ds_store_b32 v7, v40, offset:128                  // storeRemap lw
v_cmp_class_f32 s[54:55], v[vgprValuC+44], v16     // check NaN and +/-INF
v_med3_f32 v12, v[vgprValuC+44], v14, v15          // Clipping f32 value if exceeds the limit
v_cndmask_b32 v12, v12, v[vgprValuC+44], s[54:55]  // 
v_cmp_class_f32 s[54:55], v[vgprValuC+45], v16     // check NaN and +/-INF
v_med3_f32 v13, v[vgprValuC+45], v14, v15          // Clipping f32 value if exceeds the limit
v_cndmask_b32 v13, v13, v[vgprValuC+45], s[54:55]  // 
v_cvt_pk_fp8_f32  v44, v12, v13 op_sel:[0,0,0]     // convert two f32 accumulated values to fp8 and save it to lo_16[0:15]
v_cmp_class_f32 s[54:55], v[vgprValuC+46], v16     // check NaN and +/-INF
v_med3_f32 v12, v[vgprValuC+46], v14, v15          // Clipping f32 value if exceeds the limit
v_cndmask_b32 v12, v12, v[vgprValuC+46], s[54:55]  // 
v_cmp_class_f32 s[54:55], v[vgprValuC+47], v16     // check NaN and +/-INF
v_med3_f32 v13, v[vgprValuC+47], v14, v15          // Clipping f32 value if exceeds the limit
v_cndmask_b32 v13, v13, v[vgprValuC+47], s[54:55]  // 
v_cvt_pk_fp8_f32  v44, v12, v13 op_sel:[0,0,1]     // convert two f32 accumulated values to fp8 and save it to hi_16[16:31]
_ds_store_b32 v7, v44, offset:136                  // storeRemap lw
	;; [unrolled: 15-line block ×4, first 2 shown]

/* Handle local read and global write */
s_waitcnt lgkmcnt(0)                               // wait for LDS write
s_barrier //wait all lds write finished

_ds_load_b128 v[20:23], v8, offset:0               // storeRemap lr
_ds_load_b128 v[24:27], v8, offset:1088            // storeRemap lr

s_waitcnt lgkmcnt(1)                               // wait for LDS read
_v_add_u32 v11, v5, 0                              // coord1 += nColPerLoad
_v_add_u32 v10, v4, 0                              // coord0 += element index of load vector
_v_add_u32 v9, v6, 0                               // offset coord1 += nColPerLoad
v_cmp_lt_u32 s[54:55], v10, s[sgprSizeI]           // coord0 < size0
v_cmp_lt_u32 s[56:57], v11, s[sgprSizeJ]           // coord1 < size1
s_and_b64 s[56:57], s[54:55], s[56:57]             // in0 && in1
v_mul_lo_u32 v9, v9, s[sgprStrideD1J]              // coord1 element offset =  coord1 * StrideD
_v_add_lshl_u32 v9, v9, v10, 0x0                   // scale to BPE
v_cndmask_b32 v9, -1, v9, s[56:57]                 // clip if OOB. offset
buffer_store_byte v20, v9, s[sgprSrdD:sgprSrdD+3], 0, offen, offset:0 // store D
_v_add_u32 v11, v5, 0                              // coord1 += nColPerLoad
_v_add_u32 v10, v4, 1                              // coord0 += element index of load vector
_v_add_u32 v9, v6, 0                               // offset coord1 += nColPerLoad
v_cmp_lt_u32 s[54:55], v10, s[sgprSizeI]           // coord0 < size0
v_cmp_lt_u32 s[56:57], v11, s[sgprSizeJ]           // coord1 < size1
s_and_b64 s[56:57], s[54:55], s[56:57]             // in0 && in1
v_mul_lo_u32 v9, v9, s[sgprStrideD1J]              // coord1 element offset =  coord1 * StrideD
_v_add_lshl_u32 v9, v9, v10, 0x0                   // scale to BPE
v_cndmask_b32 v9, -1, v9, s[56:57]                 // clip if OOB. offset
v_lshrrev_b32 v17, 8, v20                          // vGWTmp = src >> 8
buffer_store_byte v17, v9, s[sgprSrdD:sgprSrdD+3], 0, offen, offset:0 // store D
_v_add_u32 v11, v5, 0                              // coord1 += nColPerLoad
_v_add_u32 v10, v4, 2                              // coord0 += element index of load vector
_v_add_u32 v9, v6, 0                               // offset coord1 += nColPerLoad
v_cmp_lt_u32 s[54:55], v10, s[sgprSizeI]           // coord0 < size0
v_cmp_lt_u32 s[56:57], v11, s[sgprSizeJ]           // coord1 < size1
s_and_b64 s[56:57], s[54:55], s[56:57]             // in0 && in1
v_mul_lo_u32 v9, v9, s[sgprStrideD1J]              // coord1 element offset =  coord1 * StrideD
_v_add_lshl_u32 v9, v9, v10, 0x0                   // scale to BPE
v_cndmask_b32 v9, -1, v9, s[56:57]                 // clip if OOB. offset
buffer_store_byte_d16_hi v20, v9, s[sgprSrdD:sgprSrdD+3], 0, offen, offset:0 // store D
_v_add_u32 v11, v5, 0                              // coord1 += nColPerLoad
_v_add_u32 v10, v4, 3                              // coord0 += element index of load vector
_v_add_u32 v9, v6, 0                               // offset coord1 += nColPerLoad
v_cmp_lt_u32 s[54:55], v10, s[sgprSizeI]           // coord0 < size0
v_cmp_lt_u32 s[56:57], v11, s[sgprSizeJ]           // coord1 < size1
s_and_b64 s[56:57], s[54:55], s[56:57]             // in0 && in1
v_mul_lo_u32 v9, v9, s[sgprStrideD1J]              // coord1 element offset =  coord1 * StrideD
_v_add_lshl_u32 v9, v9, v10, 0x0                   // scale to BPE
v_cndmask_b32 v9, -1, v9, s[56:57]                 // clip if OOB. offset
v_lshrrev_b32 v17, 8, v20                          // vGWTmp = src >> 8
buffer_store_byte_d16_hi v17, v9, s[sgprSrdD:sgprSrdD+3], 0, offen, offset:0 // store D
_v_add_u32 v11, v5, 0                              // coord1 += nColPerLoad
_v_add_u32 v10, v4, 4                              // coord0 += element index of load vector
_v_add_u32 v9, v6, 0                               // offset coord1 += nColPerLoad
v_cmp_lt_u32 s[54:55], v10, s[sgprSizeI]           // coord0 < size0
v_cmp_lt_u32 s[56:57], v11, s[sgprSizeJ]           // coord1 < size1
s_and_b64 s[56:57], s[54:55], s[56:57]             // in0 && in1
v_mul_lo_u32 v9, v9, s[sgprStrideD1J]              // coord1 element offset =  coord1 * StrideD
_v_add_lshl_u32 v9, v9, v10, 0x0                   // scale to BPE
v_cndmask_b32 v9, -1, v9, s[56:57]                 // clip if OOB. offset
buffer_store_byte v21, v9, s[sgprSrdD:sgprSrdD+3], 0, offen, offset:0 // store D
_v_add_u32 v11, v5, 0                              // coord1 += nColPerLoad
_v_add_u32 v10, v4, 5                              // coord0 += element index of load vector
_v_add_u32 v9, v6, 0                               // offset coord1 += nColPerLoad
v_cmp_lt_u32 s[54:55], v10, s[sgprSizeI]           // coord0 < size0
v_cmp_lt_u32 s[56:57], v11, s[sgprSizeJ]           // coord1 < size1
s_and_b64 s[56:57], s[54:55], s[56:57]             // in0 && in1
v_mul_lo_u32 v9, v9, s[sgprStrideD1J]              // coord1 element offset =  coord1 * StrideD
_v_add_lshl_u32 v9, v9, v10, 0x0                   // scale to BPE
v_cndmask_b32 v9, -1, v9, s[56:57]                 // clip if OOB. offset
v_lshrrev_b32 v17, 8, v21                          // vGWTmp = src >> 8
buffer_store_byte v17, v9, s[sgprSrdD:sgprSrdD+3], 0, offen, offset:0 // store D
_v_add_u32 v11, v5, 0                              // coord1 += nColPerLoad
_v_add_u32 v10, v4, 6                              // coord0 += element index of load vector
_v_add_u32 v9, v6, 0                               // offset coord1 += nColPerLoad
v_cmp_lt_u32 s[54:55], v10, s[sgprSizeI]           // coord0 < size0
v_cmp_lt_u32 s[56:57], v11, s[sgprSizeJ]           // coord1 < size1
s_and_b64 s[56:57], s[54:55], s[56:57]             // in0 && in1
v_mul_lo_u32 v9, v9, s[sgprStrideD1J]              // coord1 element offset =  coord1 * StrideD
_v_add_lshl_u32 v9, v9, v10, 0x0                   // scale to BPE
v_cndmask_b32 v9, -1, v9, s[56:57]                 // clip if OOB. offset
buffer_store_byte_d16_hi v21, v9, s[sgprSrdD:sgprSrdD+3], 0, offen, offset:0 // store D
_v_add_u32 v11, v5, 0                              // coord1 += nColPerLoad
_v_add_u32 v10, v4, 7                              // coord0 += element index of load vector
_v_add_u32 v9, v6, 0                               // offset coord1 += nColPerLoad
v_cmp_lt_u32 s[54:55], v10, s[sgprSizeI]           // coord0 < size0
v_cmp_lt_u32 s[56:57], v11, s[sgprSizeJ]           // coord1 < size1
s_and_b64 s[56:57], s[54:55], s[56:57]             // in0 && in1
v_mul_lo_u32 v9, v9, s[sgprStrideD1J]              // coord1 element offset =  coord1 * StrideD
_v_add_lshl_u32 v9, v9, v10, 0x0                   // scale to BPE
v_cndmask_b32 v9, -1, v9, s[56:57]                 // clip if OOB. offset
v_lshrrev_b32 v17, 8, v21                          // vGWTmp = src >> 8
buffer_store_byte_d16_hi v17, v9, s[sgprSrdD:sgprSrdD+3], 0, offen, offset:0 // store D
_v_add_u32 v11, v5, 0                              // coord1 += nColPerLoad
_v_add_u32 v10, v4, 8                              // coord0 += element index of load vector
_v_add_u32 v9, v6, 0                               // offset coord1 += nColPerLoad
v_cmp_lt_u32 s[54:55], v10, s[sgprSizeI]           // coord0 < size0
v_cmp_lt_u32 s[56:57], v11, s[sgprSizeJ]           // coord1 < size1
s_and_b64 s[56:57], s[54:55], s[56:57]             // in0 && in1
v_mul_lo_u32 v9, v9, s[sgprStrideD1J]              // coord1 element offset =  coord1 * StrideD
_v_add_lshl_u32 v9, v9, v10, 0x0                   // scale to BPE
v_cndmask_b32 v9, -1, v9, s[56:57]                 // clip if OOB. offset
buffer_store_byte v22, v9, s[sgprSrdD:sgprSrdD+3], 0, offen, offset:0 // store D
_v_add_u32 v11, v5, 0                              // coord1 += nColPerLoad
_v_add_u32 v10, v4, 9                              // coord0 += element index of load vector
_v_add_u32 v9, v6, 0                               // offset coord1 += nColPerLoad
v_cmp_lt_u32 s[54:55], v10, s[sgprSizeI]           // coord0 < size0
v_cmp_lt_u32 s[56:57], v11, s[sgprSizeJ]           // coord1 < size1
s_and_b64 s[56:57], s[54:55], s[56:57]             // in0 && in1
v_mul_lo_u32 v9, v9, s[sgprStrideD1J]              // coord1 element offset =  coord1 * StrideD
_v_add_lshl_u32 v9, v9, v10, 0x0                   // scale to BPE
v_cndmask_b32 v9, -1, v9, s[56:57]                 // clip if OOB. offset
v_lshrrev_b32 v17, 8, v22                          // vGWTmp = src >> 8
buffer_store_byte v17, v9, s[sgprSrdD:sgprSrdD+3], 0, offen, offset:0 // store D
_v_add_u32 v11, v5, 0                              // coord1 += nColPerLoad
_v_add_u32 v10, v4, 10                             // coord0 += element index of load vector
_v_add_u32 v9, v6, 0                               // offset coord1 += nColPerLoad
v_cmp_lt_u32 s[54:55], v10, s[sgprSizeI]           // coord0 < size0
v_cmp_lt_u32 s[56:57], v11, s[sgprSizeJ]           // coord1 < size1
s_and_b64 s[56:57], s[54:55], s[56:57]             // in0 && in1
v_mul_lo_u32 v9, v9, s[sgprStrideD1J]              // coord1 element offset =  coord1 * StrideD
_v_add_lshl_u32 v9, v9, v10, 0x0                   // scale to BPE
v_cndmask_b32 v9, -1, v9, s[56:57]                 // clip if OOB. offset
buffer_store_byte_d16_hi v22, v9, s[sgprSrdD:sgprSrdD+3], 0, offen, offset:0 // store D
_v_add_u32 v11, v5, 0                              // coord1 += nColPerLoad
_v_add_u32 v10, v4, 11                             // coord0 += element index of load vector
_v_add_u32 v9, v6, 0                               // offset coord1 += nColPerLoad
v_cmp_lt_u32 s[54:55], v10, s[sgprSizeI]           // coord0 < size0
v_cmp_lt_u32 s[56:57], v11, s[sgprSizeJ]           // coord1 < size1
s_and_b64 s[56:57], s[54:55], s[56:57]             // in0 && in1
v_mul_lo_u32 v9, v9, s[sgprStrideD1J]              // coord1 element offset =  coord1 * StrideD
_v_add_lshl_u32 v9, v9, v10, 0x0                   // scale to BPE
v_cndmask_b32 v9, -1, v9, s[56:57]                 // clip if OOB. offset
v_lshrrev_b32 v17, 8, v22                          // vGWTmp = src >> 8
buffer_store_byte_d16_hi v17, v9, s[sgprSrdD:sgprSrdD+3], 0, offen, offset:0 // store D
_v_add_u32 v11, v5, 0                              // coord1 += nColPerLoad
_v_add_u32 v10, v4, 12                             // coord0 += element index of load vector
_v_add_u32 v9, v6, 0                               // offset coord1 += nColPerLoad
v_cmp_lt_u32 s[54:55], v10, s[sgprSizeI]           // coord0 < size0
v_cmp_lt_u32 s[56:57], v11, s[sgprSizeJ]           // coord1 < size1
s_and_b64 s[56:57], s[54:55], s[56:57]             // in0 && in1
v_mul_lo_u32 v9, v9, s[sgprStrideD1J]              // coord1 element offset =  coord1 * StrideD
_v_add_lshl_u32 v9, v9, v10, 0x0                   // scale to BPE
v_cndmask_b32 v9, -1, v9, s[56:57]                 // clip if OOB. offset
buffer_store_byte v23, v9, s[sgprSrdD:sgprSrdD+3], 0, offen, offset:0 // store D
_v_add_u32 v11, v5, 0                              // coord1 += nColPerLoad
_v_add_u32 v10, v4, 13                             // coord0 += element index of load vector
_v_add_u32 v9, v6, 0                               // offset coord1 += nColPerLoad
v_cmp_lt_u32 s[54:55], v10, s[sgprSizeI]           // coord0 < size0
v_cmp_lt_u32 s[56:57], v11, s[sgprSizeJ]           // coord1 < size1
s_and_b64 s[56:57], s[54:55], s[56:57]             // in0 && in1
v_mul_lo_u32 v9, v9, s[sgprStrideD1J]              // coord1 element offset =  coord1 * StrideD
_v_add_lshl_u32 v9, v9, v10, 0x0                   // scale to BPE
v_cndmask_b32 v9, -1, v9, s[56:57]                 // clip if OOB. offset
v_lshrrev_b32 v17, 8, v23                          // vGWTmp = src >> 8
buffer_store_byte v17, v9, s[sgprSrdD:sgprSrdD+3], 0, offen, offset:0 // store D
_v_add_u32 v11, v5, 0                              // coord1 += nColPerLoad
_v_add_u32 v10, v4, 14                             // coord0 += element index of load vector
_v_add_u32 v9, v6, 0                               // offset coord1 += nColPerLoad
v_cmp_lt_u32 s[54:55], v10, s[sgprSizeI]           // coord0 < size0
v_cmp_lt_u32 s[56:57], v11, s[sgprSizeJ]           // coord1 < size1
s_and_b64 s[56:57], s[54:55], s[56:57]             // in0 && in1
v_mul_lo_u32 v9, v9, s[sgprStrideD1J]              // coord1 element offset =  coord1 * StrideD
_v_add_lshl_u32 v9, v9, v10, 0x0                   // scale to BPE
v_cndmask_b32 v9, -1, v9, s[56:57]                 // clip if OOB. offset
buffer_store_byte_d16_hi v23, v9, s[sgprSrdD:sgprSrdD+3], 0, offen, offset:0 // store D
_v_add_u32 v11, v5, 0                              // coord1 += nColPerLoad
_v_add_u32 v10, v4, 15                             // coord0 += element index of load vector
_v_add_u32 v9, v6, 0                               // offset coord1 += nColPerLoad
v_cmp_lt_u32 s[54:55], v10, s[sgprSizeI]           // coord0 < size0
v_cmp_lt_u32 s[56:57], v11, s[sgprSizeJ]           // coord1 < size1
s_and_b64 s[56:57], s[54:55], s[56:57]             // in0 && in1
v_mul_lo_u32 v9, v9, s[sgprStrideD1J]              // coord1 element offset =  coord1 * StrideD
_v_add_lshl_u32 v9, v9, v10, 0x0                   // scale to BPE
v_cndmask_b32 v9, -1, v9, s[56:57]                 // clip if OOB. offset
v_lshrrev_b32 v17, 8, v23                          // vGWTmp = src >> 8
buffer_store_byte_d16_hi v17, v9, s[sgprSrdD:sgprSrdD+3], 0, offen, offset:0 // store D
s_waitcnt lgkmcnt(0)                               // wait for LDS read
_v_add_u32 v11, v5, 4                              // coord1 += nColPerLoad
_v_add_u32 v10, v4, 0                              // coord0 += element index of load vector
_v_add_u32 v9, v6, 4                               // offset coord1 += nColPerLoad
v_cmp_lt_u32 s[54:55], v10, s[sgprSizeI]           // coord0 < size0
v_cmp_lt_u32 s[56:57], v11, s[sgprSizeJ]           // coord1 < size1
s_and_b64 s[56:57], s[54:55], s[56:57]             // in0 && in1
v_mul_lo_u32 v9, v9, s[sgprStrideD1J]              // coord1 element offset =  coord1 * StrideD
_v_add_lshl_u32 v9, v9, v10, 0x0                   // scale to BPE
v_cndmask_b32 v9, -1, v9, s[56:57]                 // clip if OOB. offset
buffer_store_byte v24, v9, s[sgprSrdD:sgprSrdD+3], 0, offen, offset:0 // store D
_v_add_u32 v11, v5, 4                              // coord1 += nColPerLoad
_v_add_u32 v10, v4, 1                              // coord0 += element index of load vector
_v_add_u32 v9, v6, 4                               // offset coord1 += nColPerLoad
v_cmp_lt_u32 s[54:55], v10, s[sgprSizeI]           // coord0 < size0
v_cmp_lt_u32 s[56:57], v11, s[sgprSizeJ]           // coord1 < size1
s_and_b64 s[56:57], s[54:55], s[56:57]             // in0 && in1
v_mul_lo_u32 v9, v9, s[sgprStrideD1J]              // coord1 element offset =  coord1 * StrideD
_v_add_lshl_u32 v9, v9, v10, 0x0                   // scale to BPE
v_cndmask_b32 v9, -1, v9, s[56:57]                 // clip if OOB. offset
v_lshrrev_b32 v17, 8, v24                          // vGWTmp = src >> 8
buffer_store_byte v17, v9, s[sgprSrdD:sgprSrdD+3], 0, offen, offset:0 // store D
_v_add_u32 v11, v5, 4                              // coord1 += nColPerLoad
_v_add_u32 v10, v4, 2                              // coord0 += element index of load vector
_v_add_u32 v9, v6, 4                               // offset coord1 += nColPerLoad
v_cmp_lt_u32 s[54:55], v10, s[sgprSizeI]           // coord0 < size0
v_cmp_lt_u32 s[56:57], v11, s[sgprSizeJ]           // coord1 < size1
s_and_b64 s[56:57], s[54:55], s[56:57]             // in0 && in1
v_mul_lo_u32 v9, v9, s[sgprStrideD1J]              // coord1 element offset =  coord1 * StrideD
_v_add_lshl_u32 v9, v9, v10, 0x0                   // scale to BPE
v_cndmask_b32 v9, -1, v9, s[56:57]                 // clip if OOB. offset
buffer_store_byte_d16_hi v24, v9, s[sgprSrdD:sgprSrdD+3], 0, offen, offset:0 // store D
_v_add_u32 v11, v5, 4                              // coord1 += nColPerLoad
_v_add_u32 v10, v4, 3                              // coord0 += element index of load vector
_v_add_u32 v9, v6, 4                               // offset coord1 += nColPerLoad
v_cmp_lt_u32 s[54:55], v10, s[sgprSizeI]           // coord0 < size0
v_cmp_lt_u32 s[56:57], v11, s[sgprSizeJ]           // coord1 < size1
s_and_b64 s[56:57], s[54:55], s[56:57]             // in0 && in1
v_mul_lo_u32 v9, v9, s[sgprStrideD1J]              // coord1 element offset =  coord1 * StrideD
_v_add_lshl_u32 v9, v9, v10, 0x0                   // scale to BPE
v_cndmask_b32 v9, -1, v9, s[56:57]                 // clip if OOB. offset
v_lshrrev_b32 v17, 8, v24                          // vGWTmp = src >> 8
buffer_store_byte_d16_hi v17, v9, s[sgprSrdD:sgprSrdD+3], 0, offen, offset:0 // store D
_v_add_u32 v11, v5, 4                              // coord1 += nColPerLoad
_v_add_u32 v10, v4, 4                              // coord0 += element index of load vector
_v_add_u32 v9, v6, 4                               // offset coord1 += nColPerLoad
v_cmp_lt_u32 s[54:55], v10, s[sgprSizeI]           // coord0 < size0
v_cmp_lt_u32 s[56:57], v11, s[sgprSizeJ]           // coord1 < size1
s_and_b64 s[56:57], s[54:55], s[56:57]             // in0 && in1
v_mul_lo_u32 v9, v9, s[sgprStrideD1J]              // coord1 element offset =  coord1 * StrideD
_v_add_lshl_u32 v9, v9, v10, 0x0                   // scale to BPE
v_cndmask_b32 v9, -1, v9, s[56:57]                 // clip if OOB. offset
buffer_store_byte v25, v9, s[sgprSrdD:sgprSrdD+3], 0, offen, offset:0 // store D
_v_add_u32 v11, v5, 4                              // coord1 += nColPerLoad
_v_add_u32 v10, v4, 5                              // coord0 += element index of load vector
_v_add_u32 v9, v6, 4                               // offset coord1 += nColPerLoad
v_cmp_lt_u32 s[54:55], v10, s[sgprSizeI]           // coord0 < size0
v_cmp_lt_u32 s[56:57], v11, s[sgprSizeJ]           // coord1 < size1
s_and_b64 s[56:57], s[54:55], s[56:57]             // in0 && in1
v_mul_lo_u32 v9, v9, s[sgprStrideD1J]              // coord1 element offset =  coord1 * StrideD
_v_add_lshl_u32 v9, v9, v10, 0x0                   // scale to BPE
v_cndmask_b32 v9, -1, v9, s[56:57]                 // clip if OOB. offset
v_lshrrev_b32 v17, 8, v25                          // vGWTmp = src >> 8
buffer_store_byte v17, v9, s[sgprSrdD:sgprSrdD+3], 0, offen, offset:0 // store D
_v_add_u32 v11, v5, 4                              // coord1 += nColPerLoad
_v_add_u32 v10, v4, 6                              // coord0 += element index of load vector
_v_add_u32 v9, v6, 4                               // offset coord1 += nColPerLoad
v_cmp_lt_u32 s[54:55], v10, s[sgprSizeI]           // coord0 < size0
v_cmp_lt_u32 s[56:57], v11, s[sgprSizeJ]           // coord1 < size1
s_and_b64 s[56:57], s[54:55], s[56:57]             // in0 && in1
v_mul_lo_u32 v9, v9, s[sgprStrideD1J]              // coord1 element offset =  coord1 * StrideD
_v_add_lshl_u32 v9, v9, v10, 0x0                   // scale to BPE
v_cndmask_b32 v9, -1, v9, s[56:57]                 // clip if OOB. offset
buffer_store_byte_d16_hi v25, v9, s[sgprSrdD:sgprSrdD+3], 0, offen, offset:0 // store D
_v_add_u32 v11, v5, 4                              // coord1 += nColPerLoad
_v_add_u32 v10, v4, 7                              // coord0 += element index of load vector
_v_add_u32 v9, v6, 4                               // offset coord1 += nColPerLoad
v_cmp_lt_u32 s[54:55], v10, s[sgprSizeI]           // coord0 < size0
v_cmp_lt_u32 s[56:57], v11, s[sgprSizeJ]           // coord1 < size1
s_and_b64 s[56:57], s[54:55], s[56:57]             // in0 && in1
v_mul_lo_u32 v9, v9, s[sgprStrideD1J]              // coord1 element offset =  coord1 * StrideD
_v_add_lshl_u32 v9, v9, v10, 0x0                   // scale to BPE
v_cndmask_b32 v9, -1, v9, s[56:57]                 // clip if OOB. offset
v_lshrrev_b32 v17, 8, v25                          // vGWTmp = src >> 8
buffer_store_byte_d16_hi v17, v9, s[sgprSrdD:sgprSrdD+3], 0, offen, offset:0 // store D
_v_add_u32 v11, v5, 4                              // coord1 += nColPerLoad
_v_add_u32 v10, v4, 8                              // coord0 += element index of load vector
_v_add_u32 v9, v6, 4                               // offset coord1 += nColPerLoad
v_cmp_lt_u32 s[54:55], v10, s[sgprSizeI]           // coord0 < size0
v_cmp_lt_u32 s[56:57], v11, s[sgprSizeJ]           // coord1 < size1
s_and_b64 s[56:57], s[54:55], s[56:57]             // in0 && in1
v_mul_lo_u32 v9, v9, s[sgprStrideD1J]              // coord1 element offset =  coord1 * StrideD
_v_add_lshl_u32 v9, v9, v10, 0x0                   // scale to BPE
v_cndmask_b32 v9, -1, v9, s[56:57]                 // clip if OOB. offset
buffer_store_byte v26, v9, s[sgprSrdD:sgprSrdD+3], 0, offen, offset:0 // store D
_v_add_u32 v11, v5, 4                              // coord1 += nColPerLoad
_v_add_u32 v10, v4, 9                              // coord0 += element index of load vector
_v_add_u32 v9, v6, 4                               // offset coord1 += nColPerLoad
v_cmp_lt_u32 s[54:55], v10, s[sgprSizeI]           // coord0 < size0
v_cmp_lt_u32 s[56:57], v11, s[sgprSizeJ]           // coord1 < size1
s_and_b64 s[56:57], s[54:55], s[56:57]             // in0 && in1
v_mul_lo_u32 v9, v9, s[sgprStrideD1J]              // coord1 element offset =  coord1 * StrideD
_v_add_lshl_u32 v9, v9, v10, 0x0                   // scale to BPE
v_cndmask_b32 v9, -1, v9, s[56:57]                 // clip if OOB. offset
v_lshrrev_b32 v17, 8, v26                          // vGWTmp = src >> 8
buffer_store_byte v17, v9, s[sgprSrdD:sgprSrdD+3], 0, offen, offset:0 // store D
_v_add_u32 v11, v5, 4                              // coord1 += nColPerLoad
_v_add_u32 v10, v4, 10                             // coord0 += element index of load vector
_v_add_u32 v9, v6, 4                               // offset coord1 += nColPerLoad
v_cmp_lt_u32 s[54:55], v10, s[sgprSizeI]           // coord0 < size0
v_cmp_lt_u32 s[56:57], v11, s[sgprSizeJ]           // coord1 < size1
s_and_b64 s[56:57], s[54:55], s[56:57]             // in0 && in1
v_mul_lo_u32 v9, v9, s[sgprStrideD1J]              // coord1 element offset =  coord1 * StrideD
_v_add_lshl_u32 v9, v9, v10, 0x0                   // scale to BPE
v_cndmask_b32 v9, -1, v9, s[56:57]                 // clip if OOB. offset
buffer_store_byte_d16_hi v26, v9, s[sgprSrdD:sgprSrdD+3], 0, offen, offset:0 // store D
_v_add_u32 v11, v5, 4                              // coord1 += nColPerLoad
_v_add_u32 v10, v4, 11                             // coord0 += element index of load vector
_v_add_u32 v9, v6, 4                               // offset coord1 += nColPerLoad
v_cmp_lt_u32 s[54:55], v10, s[sgprSizeI]           // coord0 < size0
v_cmp_lt_u32 s[56:57], v11, s[sgprSizeJ]           // coord1 < size1
s_and_b64 s[56:57], s[54:55], s[56:57]             // in0 && in1
v_mul_lo_u32 v9, v9, s[sgprStrideD1J]              // coord1 element offset =  coord1 * StrideD
_v_add_lshl_u32 v9, v9, v10, 0x0                   // scale to BPE
v_cndmask_b32 v9, -1, v9, s[56:57]                 // clip if OOB. offset
v_lshrrev_b32 v17, 8, v26                          // vGWTmp = src >> 8
buffer_store_byte_d16_hi v17, v9, s[sgprSrdD:sgprSrdD+3], 0, offen, offset:0 // store D
_v_add_u32 v11, v5, 4                              // coord1 += nColPerLoad
_v_add_u32 v10, v4, 12                             // coord0 += element index of load vector
_v_add_u32 v9, v6, 4                               // offset coord1 += nColPerLoad
v_cmp_lt_u32 s[54:55], v10, s[sgprSizeI]           // coord0 < size0
v_cmp_lt_u32 s[56:57], v11, s[sgprSizeJ]           // coord1 < size1
s_and_b64 s[56:57], s[54:55], s[56:57]             // in0 && in1
v_mul_lo_u32 v9, v9, s[sgprStrideD1J]              // coord1 element offset =  coord1 * StrideD
_v_add_lshl_u32 v9, v9, v10, 0x0                   // scale to BPE
v_cndmask_b32 v9, -1, v9, s[56:57]                 // clip if OOB. offset
buffer_store_byte v27, v9, s[sgprSrdD:sgprSrdD+3], 0, offen, offset:0 // store D
_v_add_u32 v11, v5, 4                              // coord1 += nColPerLoad
_v_add_u32 v10, v4, 13                             // coord0 += element index of load vector
_v_add_u32 v9, v6, 4                               // offset coord1 += nColPerLoad
v_cmp_lt_u32 s[54:55], v10, s[sgprSizeI]           // coord0 < size0
v_cmp_lt_u32 s[56:57], v11, s[sgprSizeJ]           // coord1 < size1
s_and_b64 s[56:57], s[54:55], s[56:57]             // in0 && in1
v_mul_lo_u32 v9, v9, s[sgprStrideD1J]              // coord1 element offset =  coord1 * StrideD
_v_add_lshl_u32 v9, v9, v10, 0x0                   // scale to BPE
v_cndmask_b32 v9, -1, v9, s[56:57]                 // clip if OOB. offset
v_lshrrev_b32 v17, 8, v27                          // vGWTmp = src >> 8
buffer_store_byte v17, v9, s[sgprSrdD:sgprSrdD+3], 0, offen, offset:0 // store D
_v_add_u32 v11, v5, 4                              // coord1 += nColPerLoad
_v_add_u32 v10, v4, 14                             // coord0 += element index of load vector
_v_add_u32 v9, v6, 4                               // offset coord1 += nColPerLoad
v_cmp_lt_u32 s[54:55], v10, s[sgprSizeI]           // coord0 < size0
v_cmp_lt_u32 s[56:57], v11, s[sgprSizeJ]           // coord1 < size1
s_and_b64 s[56:57], s[54:55], s[56:57]             // in0 && in1
v_mul_lo_u32 v9, v9, s[sgprStrideD1J]              // coord1 element offset =  coord1 * StrideD
_v_add_lshl_u32 v9, v9, v10, 0x0                   // scale to BPE
v_cndmask_b32 v9, -1, v9, s[56:57]                 // clip if OOB. offset
buffer_store_byte_d16_hi v27, v9, s[sgprSrdD:sgprSrdD+3], 0, offen, offset:0 // store D
_v_add_u32 v11, v5, 4                              // coord1 += nColPerLoad
_v_add_u32 v10, v4, 15                             // coord0 += element index of load vector
_v_add_u32 v9, v6, 4                               // offset coord1 += nColPerLoad
v_cmp_lt_u32 s[54:55], v10, s[sgprSizeI]           // coord0 < size0
v_cmp_lt_u32 s[56:57], v11, s[sgprSizeJ]           // coord1 < size1
s_and_b64 s[56:57], s[54:55], s[56:57]             // in0 && in1
v_mul_lo_u32 v9, v9, s[sgprStrideD1J]              // coord1 element offset =  coord1 * StrideD
_v_add_lshl_u32 v9, v9, v10, 0x0                   // scale to BPE
v_cndmask_b32 v9, -1, v9, s[56:57]                 // clip if OOB. offset
v_lshrrev_b32 v17, 8, v27                          // vGWTmp = src >> 8
buffer_store_byte_d16_hi v17, v9, s[sgprSrdD:sgprSrdD+3], 0, offen, offset:0 // store D

s_barrier //wait all lds read finished
s_nop 0                                            // 1 wait state required when next inst writes vgprs held by previous dwordx4 store inst
/* optSingleColVgpr=0 optSharedColVgpr=0 optSGPRUsage=BufferLoad_Edge_Mask optSrdIncForRow=1 */

/******************************************/
/* Global Write Alpha Edge Batch #4 (d1,d0,vc1,vc0) = */
/*    (4,0,0,0:vw4); (4,1,0,0:vw4); (4,2,0,0:vw4); (4,3,0,0:vw4); (4,4,0,0:vw4); (4,5,0,0:vw4); (4,6,0,0:vw4); (4,7,0,0:vw4) */
/******************************************/

/* calc coords, apply mask, and issue loads (if necessary) */
/* (d1,vc1,d0,vc0)=(4,0,0,0) */
_v_add_co_u32 v1, vcc, v1, 32                      // coord1.1: coord1Vgpr += d1*sg1*VW + vc1
_v_add_lshl_u32 v9, v3, v0, 0x0                    // scaleToBpe: accumulate d0 lower and *= bpe into Cin addr
/* (d1,vc1,d0,vc0)=(4,0,1,0) */
_v_add_co_u32 v10, vcc, v0, 8                      // coord0.1: coord0 += d0*sg0*VW + vc0
_v_add_lshl_u32 v17, v3, v10, 0x0                  // scaleToBpe: accumulate d0 lower and *= bpe into Cin addr
/* (d1,vc1,d0,vc0)=(4,0,2,0) */
_v_add_co_u32 v10, vcc, v0, 16                     // coord0.1: coord0 += d0*sg0*VW + vc0
_v_add_lshl_u32 v18, v3, v10, 0x0                  // scaleToBpe: accumulate d0 lower and *= bpe into Cin addr
/* (d1,vc1,d0,vc0)=(4,0,3,0) */
_v_add_co_u32 v10, vcc, v0, 24                     // coord0.1: coord0 += d0*sg0*VW + vc0
_v_add_lshl_u32 v19, v3, v10, 0x0                  // scaleToBpe: accumulate d0 lower and *= bpe into Cin addr
/* (d1,vc1,d0,vc0)=(4,0,4,0) */
s_mov_b32 s54, 128                                 // coordOffset0 d0=4 vc0=0
_v_add_co_u32 v10, vcc, v0, s54                    // coord0.2: coord0 += d0*sg0*VW + vc0
_v_add_lshl_u32 v36, v3, v10, 0x0                  // scaleToBpe: accumulate d0 lower and *= bpe into Cin addr
/* (d1,vc1,d0,vc0)=(4,0,5,0) */
s_mov_b32 s54, 136                                 // coordOffset0 d0=5 vc0=0
_v_add_co_u32 v10, vcc, v0, s54                    // coord0.2: coord0 += d0*sg0*VW + vc0
	;; [unrolled: 4-line block ×4, first 2 shown]
_v_add_lshl_u32 v39, v3, v10, 0x0                  // scaleToBpe: accumulate d0 lower and *= bpe into Cin addr
v_accvgpr_read_b32 v[vgprValuC+20], acc128 // copy acc to vreg[128]
v_accvgpr_read_b32 v[vgprValuC+21], acc129 // copy acc to vreg[129]
v_accvgpr_read_b32 v[vgprValuC+22], acc130 // copy acc to vreg[130]
v_accvgpr_read_b32 v[vgprValuC+23], acc131 // copy acc to vreg[131]
v_accvgpr_read_b32 v[vgprValuC+24], acc132 // copy acc to vreg[132]
v_accvgpr_read_b32 v[vgprValuC+25], acc133 // copy acc to vreg[133]
v_accvgpr_read_b32 v[vgprValuC+26], acc134 // copy acc to vreg[134]
v_accvgpr_read_b32 v[vgprValuC+27], acc135 // copy acc to vreg[135]
v_accvgpr_read_b32 v[vgprValuC+28], acc136 // copy acc to vreg[136]
v_accvgpr_read_b32 v[vgprValuC+29], acc137 // copy acc to vreg[137]
v_accvgpr_read_b32 v[vgprValuC+30], acc138 // copy acc to vreg[138]
v_accvgpr_read_b32 v[vgprValuC+31], acc139 // copy acc to vreg[139]
v_accvgpr_read_b32 v[vgprValuC+32], acc140 // copy acc to vreg[140]
v_accvgpr_read_b32 v[vgprValuC+33], acc141 // copy acc to vreg[141]
v_accvgpr_read_b32 v[vgprValuC+34], acc142 // copy acc to vreg[142]
v_accvgpr_read_b32 v[vgprValuC+35], acc143 // copy acc to vreg[143]
v_accvgpr_read_b32 v[vgprValuC+40], acc144 // copy acc to vreg[144]
v_accvgpr_read_b32 v[vgprValuC+41], acc145 // copy acc to vreg[145]
v_accvgpr_read_b32 v[vgprValuC+42], acc146 // copy acc to vreg[146]
v_accvgpr_read_b32 v[vgprValuC+43], acc147 // copy acc to vreg[147]
v_accvgpr_read_b32 v[vgprValuC+44], acc148 // copy acc to vreg[148]
v_accvgpr_read_b32 v[vgprValuC+45], acc149 // copy acc to vreg[149]
v_accvgpr_read_b32 v[vgprValuC+46], acc150 // copy acc to vreg[150]
v_accvgpr_read_b32 v[vgprValuC+47], acc151 // copy acc to vreg[151]
v_accvgpr_read_b32 v[vgprValuC+48], acc152 // copy acc to vreg[152]
v_accvgpr_read_b32 v[vgprValuC+49], acc153 // copy acc to vreg[153]
v_accvgpr_read_b32 v[vgprValuC+50], acc154 // copy acc to vreg[154]
v_accvgpr_read_b32 v[vgprValuC+51], acc155 // copy acc to vreg[155]
v_accvgpr_read_b32 v[vgprValuC+52], acc156 // copy acc to vreg[156]
v_accvgpr_read_b32 v[vgprValuC+53], acc157 // copy acc to vreg[157]
v_accvgpr_read_b32 v[vgprValuC+54], acc158 // copy acc to vreg[158]
v_accvgpr_read_b32 v[vgprValuC+55], acc159 // copy acc to vreg[159]
s_nop 1                                            // 2 wait states required before reading vgpr

/* rC *= alpha batchElements=[(4, 0, 0, 0), (4, 1, 0, 0), (4, 2, 0, 0), (4, 3, 0, 0), (4, 4, 0, 0), (4, 5, 0, 0), (4, 6, 0, 0), (4, 7, 0, 0)] */
v_mul_f32 v[vgprValuC+20], s[sgprAlpha], v[vgprValuC+20] // *= alpha
v_mul_f32 v[vgprValuC+21], s[sgprAlpha], v[vgprValuC+21] // *= alpha
	;; [unrolled: 1-line block ×32, first 2 shown]

/* apply mask, calc new C and issue writes */
v_mov_b32 v16, 0x207                               // flag for Nan and +/- inf
v_mov_b32 v14, 0x43700000                          // save 240.0f as max for clipping
v_mov_b32 v15, 0xC3700000                          // save -240.0f as min for clipping

/* StoreRemap: shift coord1 address */
s_mul_i32 s54, s[sgprStrideD1J], 32                // scale StrideD *= numRows(32) * bpe
s_add_u32  s[sgprSrdD+0], s[sgprSrdD+0], s54       // incToNextRow: gra SRD += inc(lower)
s_addc_u32  s[sgprSrdD+1], s[sgprSrdD+1], 0        // incToNextRow: gra SRD += inc(upper)
v_mov_b32 v10, 32                                  // set shift rows
_v_add_u32 v5, v5, v10                             // shift storeRemap coord1
v_cmp_class_f32 s[54:55], v[vgprValuC+20], v16     // check NaN and +/-INF
v_med3_f32 v12, v[vgprValuC+20], v14, v15          // Clipping f32 value if exceeds the limit
v_cndmask_b32 v12, v12, v[vgprValuC+20], s[54:55]  // 
v_cmp_class_f32 s[54:55], v[vgprValuC+21], v16     // check NaN and +/-INF
v_med3_f32 v13, v[vgprValuC+21], v14, v15          // Clipping f32 value if exceeds the limit
v_cndmask_b32 v13, v13, v[vgprValuC+21], s[54:55]  // 
v_cvt_pk_fp8_f32  v20, v12, v13 op_sel:[0,0,0]     // convert two f32 accumulated values to fp8 and save it to lo_16[0:15]
v_cmp_class_f32 s[54:55], v[vgprValuC+22], v16     // check NaN and +/-INF
v_med3_f32 v12, v[vgprValuC+22], v14, v15          // Clipping f32 value if exceeds the limit
v_cndmask_b32 v12, v12, v[vgprValuC+22], s[54:55]  // 
v_cmp_class_f32 s[54:55], v[vgprValuC+23], v16     // check NaN and +/-INF
v_med3_f32 v13, v[vgprValuC+23], v14, v15          // Clipping f32 value if exceeds the limit
v_cndmask_b32 v13, v13, v[vgprValuC+23], s[54:55]  // 
v_cvt_pk_fp8_f32  v20, v12, v13 op_sel:[0,0,1]     // convert two f32 accumulated values to fp8 and save it to hi_16[16:31]
_ds_store_b32 v7, v20, offset:0                    // storeRemap lw
v_cmp_class_f32 s[54:55], v[vgprValuC+24], v16     // check NaN and +/-INF
v_med3_f32 v12, v[vgprValuC+24], v14, v15          // Clipping f32 value if exceeds the limit
v_cndmask_b32 v12, v12, v[vgprValuC+24], s[54:55]  // 
v_cmp_class_f32 s[54:55], v[vgprValuC+25], v16     // check NaN and +/-INF
v_med3_f32 v13, v[vgprValuC+25], v14, v15          // Clipping f32 value if exceeds the limit
v_cndmask_b32 v13, v13, v[vgprValuC+25], s[54:55]  // 
v_cvt_pk_fp8_f32  v24, v12, v13 op_sel:[0,0,0]     // convert two f32 accumulated values to fp8 and save it to lo_16[0:15]
v_cmp_class_f32 s[54:55], v[vgprValuC+26], v16     // check NaN and +/-INF
v_med3_f32 v12, v[vgprValuC+26], v14, v15          // Clipping f32 value if exceeds the limit
v_cndmask_b32 v12, v12, v[vgprValuC+26], s[54:55]  // 
v_cmp_class_f32 s[54:55], v[vgprValuC+27], v16     // check NaN and +/-INF
v_med3_f32 v13, v[vgprValuC+27], v14, v15          // Clipping f32 value if exceeds the limit
v_cndmask_b32 v13, v13, v[vgprValuC+27], s[54:55]  // 
v_cvt_pk_fp8_f32  v24, v12, v13 op_sel:[0,0,1]     // convert two f32 accumulated values to fp8 and save it to hi_16[16:31]
_ds_store_b32 v7, v24, offset:8                    // storeRemap lw
v_cmp_class_f32 s[54:55], v[vgprValuC+28], v16     // check NaN and +/-INF
v_med3_f32 v12, v[vgprValuC+28], v14, v15          // Clipping f32 value if exceeds the limit
v_cndmask_b32 v12, v12, v[vgprValuC+28], s[54:55]  // 
v_cmp_class_f32 s[54:55], v[vgprValuC+29], v16     // check NaN and +/-INF
v_med3_f32 v13, v[vgprValuC+29], v14, v15          // Clipping f32 value if exceeds the limit
v_cndmask_b32 v13, v13, v[vgprValuC+29], s[54:55]  // 
v_cvt_pk_fp8_f32  v28, v12, v13 op_sel:[0,0,0]     // convert two f32 accumulated values to fp8 and save it to lo_16[0:15]
v_cmp_class_f32 s[54:55], v[vgprValuC+30], v16     // check NaN and +/-INF
v_med3_f32 v12, v[vgprValuC+30], v14, v15          // Clipping f32 value if exceeds the limit
v_cndmask_b32 v12, v12, v[vgprValuC+30], s[54:55]  // 
v_cmp_class_f32 s[54:55], v[vgprValuC+31], v16     // check NaN and +/-INF
v_med3_f32 v13, v[vgprValuC+31], v14, v15          // Clipping f32 value if exceeds the limit
v_cndmask_b32 v13, v13, v[vgprValuC+31], s[54:55]  // 
v_cvt_pk_fp8_f32  v28, v12, v13 op_sel:[0,0,1]     // convert two f32 accumulated values to fp8 and save it to hi_16[16:31]
_ds_store_b32 v7, v28, offset:16                   // storeRemap lw
v_cmp_class_f32 s[54:55], v[vgprValuC+32], v16     // check NaN and +/-INF
v_med3_f32 v12, v[vgprValuC+32], v14, v15          // Clipping f32 value if exceeds the limit
v_cndmask_b32 v12, v12, v[vgprValuC+32], s[54:55]  // 
v_cmp_class_f32 s[54:55], v[vgprValuC+33], v16     // check NaN and +/-INF
v_med3_f32 v13, v[vgprValuC+33], v14, v15          // Clipping f32 value if exceeds the limit
v_cndmask_b32 v13, v13, v[vgprValuC+33], s[54:55]  // 
v_cvt_pk_fp8_f32  v32, v12, v13 op_sel:[0,0,0]     // convert two f32 accumulated values to fp8 and save it to lo_16[0:15]
v_cmp_class_f32 s[54:55], v[vgprValuC+34], v16     // check NaN and +/-INF
v_med3_f32 v12, v[vgprValuC+34], v14, v15          // Clipping f32 value if exceeds the limit
v_cndmask_b32 v12, v12, v[vgprValuC+34], s[54:55]  // 
v_cmp_class_f32 s[54:55], v[vgprValuC+35], v16     // check NaN and +/-INF
v_med3_f32 v13, v[vgprValuC+35], v14, v15          // Clipping f32 value if exceeds the limit
v_cndmask_b32 v13, v13, v[vgprValuC+35], s[54:55]  // 
v_cvt_pk_fp8_f32  v32, v12, v13 op_sel:[0,0,1]     // convert two f32 accumulated values to fp8 and save it to hi_16[16:31]
_ds_store_b32 v7, v32, offset:24                   // storeRemap lw
v_cmp_class_f32 s[54:55], v[vgprValuC+40], v16     // check NaN and +/-INF
v_med3_f32 v12, v[vgprValuC+40], v14, v15          // Clipping f32 value if exceeds the limit
v_cndmask_b32 v12, v12, v[vgprValuC+40], s[54:55]  // 
v_cmp_class_f32 s[54:55], v[vgprValuC+41], v16     // check NaN and +/-INF
v_med3_f32 v13, v[vgprValuC+41], v14, v15          // Clipping f32 value if exceeds the limit
v_cndmask_b32 v13, v13, v[vgprValuC+41], s[54:55]  // 
v_cvt_pk_fp8_f32  v40, v12, v13 op_sel:[0,0,0]     // convert two f32 accumulated values to fp8 and save it to lo_16[0:15]
v_cmp_class_f32 s[54:55], v[vgprValuC+42], v16     // check NaN and +/-INF
v_med3_f32 v12, v[vgprValuC+42], v14, v15          // Clipping f32 value if exceeds the limit
v_cndmask_b32 v12, v12, v[vgprValuC+42], s[54:55]  // 
v_cmp_class_f32 s[54:55], v[vgprValuC+43], v16     // check NaN and +/-INF
v_med3_f32 v13, v[vgprValuC+43], v14, v15          // Clipping f32 value if exceeds the limit
v_cndmask_b32 v13, v13, v[vgprValuC+43], s[54:55]  // 
v_cvt_pk_fp8_f32  v40, v12, v13 op_sel:[0,0,1]     // convert two f32 accumulated values to fp8 and save it to hi_16[16:31]
_ds_store_b32 v7, v40, offset:128                  // storeRemap lw
v_cmp_class_f32 s[54:55], v[vgprValuC+44], v16     // check NaN and +/-INF
v_med3_f32 v12, v[vgprValuC+44], v14, v15          // Clipping f32 value if exceeds the limit
v_cndmask_b32 v12, v12, v[vgprValuC+44], s[54:55]  // 
v_cmp_class_f32 s[54:55], v[vgprValuC+45], v16     // check NaN and +/-INF
v_med3_f32 v13, v[vgprValuC+45], v14, v15          // Clipping f32 value if exceeds the limit
v_cndmask_b32 v13, v13, v[vgprValuC+45], s[54:55]  // 
v_cvt_pk_fp8_f32  v44, v12, v13 op_sel:[0,0,0]     // convert two f32 accumulated values to fp8 and save it to lo_16[0:15]
v_cmp_class_f32 s[54:55], v[vgprValuC+46], v16     // check NaN and +/-INF
v_med3_f32 v12, v[vgprValuC+46], v14, v15          // Clipping f32 value if exceeds the limit
v_cndmask_b32 v12, v12, v[vgprValuC+46], s[54:55]  // 
v_cmp_class_f32 s[54:55], v[vgprValuC+47], v16     // check NaN and +/-INF
v_med3_f32 v13, v[vgprValuC+47], v14, v15          // Clipping f32 value if exceeds the limit
v_cndmask_b32 v13, v13, v[vgprValuC+47], s[54:55]  // 
v_cvt_pk_fp8_f32  v44, v12, v13 op_sel:[0,0,1]     // convert two f32 accumulated values to fp8 and save it to hi_16[16:31]
_ds_store_b32 v7, v44, offset:136                  // storeRemap lw
	;; [unrolled: 15-line block ×4, first 2 shown]

/* Handle local read and global write */
s_waitcnt lgkmcnt(0)                               // wait for LDS write
s_barrier //wait all lds write finished

_ds_load_b128 v[20:23], v8, offset:0               // storeRemap lr
_ds_load_b128 v[24:27], v8, offset:1088            // storeRemap lr

s_waitcnt lgkmcnt(1)                               // wait for LDS read
_v_add_u32 v11, v5, 0                              // coord1 += nColPerLoad
_v_add_u32 v10, v4, 0                              // coord0 += element index of load vector
_v_add_u32 v9, v6, 0                               // offset coord1 += nColPerLoad
v_cmp_lt_u32 s[54:55], v10, s[sgprSizeI]           // coord0 < size0
v_cmp_lt_u32 s[56:57], v11, s[sgprSizeJ]           // coord1 < size1
s_and_b64 s[56:57], s[54:55], s[56:57]             // in0 && in1
v_mul_lo_u32 v9, v9, s[sgprStrideD1J]              // coord1 element offset =  coord1 * StrideD
_v_add_lshl_u32 v9, v9, v10, 0x0                   // scale to BPE
v_cndmask_b32 v9, -1, v9, s[56:57]                 // clip if OOB. offset
buffer_store_byte v20, v9, s[sgprSrdD:sgprSrdD+3], 0, offen, offset:0 // store D
_v_add_u32 v11, v5, 0                              // coord1 += nColPerLoad
_v_add_u32 v10, v4, 1                              // coord0 += element index of load vector
_v_add_u32 v9, v6, 0                               // offset coord1 += nColPerLoad
v_cmp_lt_u32 s[54:55], v10, s[sgprSizeI]           // coord0 < size0
v_cmp_lt_u32 s[56:57], v11, s[sgprSizeJ]           // coord1 < size1
s_and_b64 s[56:57], s[54:55], s[56:57]             // in0 && in1
v_mul_lo_u32 v9, v9, s[sgprStrideD1J]              // coord1 element offset =  coord1 * StrideD
_v_add_lshl_u32 v9, v9, v10, 0x0                   // scale to BPE
v_cndmask_b32 v9, -1, v9, s[56:57]                 // clip if OOB. offset
v_lshrrev_b32 v17, 8, v20                          // vGWTmp = src >> 8
buffer_store_byte v17, v9, s[sgprSrdD:sgprSrdD+3], 0, offen, offset:0 // store D
_v_add_u32 v11, v5, 0                              // coord1 += nColPerLoad
_v_add_u32 v10, v4, 2                              // coord0 += element index of load vector
_v_add_u32 v9, v6, 0                               // offset coord1 += nColPerLoad
v_cmp_lt_u32 s[54:55], v10, s[sgprSizeI]           // coord0 < size0
v_cmp_lt_u32 s[56:57], v11, s[sgprSizeJ]           // coord1 < size1
s_and_b64 s[56:57], s[54:55], s[56:57]             // in0 && in1
v_mul_lo_u32 v9, v9, s[sgprStrideD1J]              // coord1 element offset =  coord1 * StrideD
_v_add_lshl_u32 v9, v9, v10, 0x0                   // scale to BPE
v_cndmask_b32 v9, -1, v9, s[56:57]                 // clip if OOB. offset
buffer_store_byte_d16_hi v20, v9, s[sgprSrdD:sgprSrdD+3], 0, offen, offset:0 // store D
_v_add_u32 v11, v5, 0                              // coord1 += nColPerLoad
_v_add_u32 v10, v4, 3                              // coord0 += element index of load vector
_v_add_u32 v9, v6, 0                               // offset coord1 += nColPerLoad
v_cmp_lt_u32 s[54:55], v10, s[sgprSizeI]           // coord0 < size0
v_cmp_lt_u32 s[56:57], v11, s[sgprSizeJ]           // coord1 < size1
s_and_b64 s[56:57], s[54:55], s[56:57]             // in0 && in1
v_mul_lo_u32 v9, v9, s[sgprStrideD1J]              // coord1 element offset =  coord1 * StrideD
_v_add_lshl_u32 v9, v9, v10, 0x0                   // scale to BPE
v_cndmask_b32 v9, -1, v9, s[56:57]                 // clip if OOB. offset
v_lshrrev_b32 v17, 8, v20                          // vGWTmp = src >> 8
buffer_store_byte_d16_hi v17, v9, s[sgprSrdD:sgprSrdD+3], 0, offen, offset:0 // store D
_v_add_u32 v11, v5, 0                              // coord1 += nColPerLoad
_v_add_u32 v10, v4, 4                              // coord0 += element index of load vector
_v_add_u32 v9, v6, 0                               // offset coord1 += nColPerLoad
v_cmp_lt_u32 s[54:55], v10, s[sgprSizeI]           // coord0 < size0
v_cmp_lt_u32 s[56:57], v11, s[sgprSizeJ]           // coord1 < size1
s_and_b64 s[56:57], s[54:55], s[56:57]             // in0 && in1
v_mul_lo_u32 v9, v9, s[sgprStrideD1J]              // coord1 element offset =  coord1 * StrideD
_v_add_lshl_u32 v9, v9, v10, 0x0                   // scale to BPE
v_cndmask_b32 v9, -1, v9, s[56:57]                 // clip if OOB. offset
buffer_store_byte v21, v9, s[sgprSrdD:sgprSrdD+3], 0, offen, offset:0 // store D
_v_add_u32 v11, v5, 0                              // coord1 += nColPerLoad
_v_add_u32 v10, v4, 5                              // coord0 += element index of load vector
_v_add_u32 v9, v6, 0                               // offset coord1 += nColPerLoad
v_cmp_lt_u32 s[54:55], v10, s[sgprSizeI]           // coord0 < size0
v_cmp_lt_u32 s[56:57], v11, s[sgprSizeJ]           // coord1 < size1
s_and_b64 s[56:57], s[54:55], s[56:57]             // in0 && in1
v_mul_lo_u32 v9, v9, s[sgprStrideD1J]              // coord1 element offset =  coord1 * StrideD
_v_add_lshl_u32 v9, v9, v10, 0x0                   // scale to BPE
v_cndmask_b32 v9, -1, v9, s[56:57]                 // clip if OOB. offset
v_lshrrev_b32 v17, 8, v21                          // vGWTmp = src >> 8
buffer_store_byte v17, v9, s[sgprSrdD:sgprSrdD+3], 0, offen, offset:0 // store D
_v_add_u32 v11, v5, 0                              // coord1 += nColPerLoad
_v_add_u32 v10, v4, 6                              // coord0 += element index of load vector
_v_add_u32 v9, v6, 0                               // offset coord1 += nColPerLoad
v_cmp_lt_u32 s[54:55], v10, s[sgprSizeI]           // coord0 < size0
v_cmp_lt_u32 s[56:57], v11, s[sgprSizeJ]           // coord1 < size1
s_and_b64 s[56:57], s[54:55], s[56:57]             // in0 && in1
v_mul_lo_u32 v9, v9, s[sgprStrideD1J]              // coord1 element offset =  coord1 * StrideD
_v_add_lshl_u32 v9, v9, v10, 0x0                   // scale to BPE
v_cndmask_b32 v9, -1, v9, s[56:57]                 // clip if OOB. offset
buffer_store_byte_d16_hi v21, v9, s[sgprSrdD:sgprSrdD+3], 0, offen, offset:0 // store D
_v_add_u32 v11, v5, 0                              // coord1 += nColPerLoad
_v_add_u32 v10, v4, 7                              // coord0 += element index of load vector
_v_add_u32 v9, v6, 0                               // offset coord1 += nColPerLoad
v_cmp_lt_u32 s[54:55], v10, s[sgprSizeI]           // coord0 < size0
v_cmp_lt_u32 s[56:57], v11, s[sgprSizeJ]           // coord1 < size1
s_and_b64 s[56:57], s[54:55], s[56:57]             // in0 && in1
v_mul_lo_u32 v9, v9, s[sgprStrideD1J]              // coord1 element offset =  coord1 * StrideD
_v_add_lshl_u32 v9, v9, v10, 0x0                   // scale to BPE
v_cndmask_b32 v9, -1, v9, s[56:57]                 // clip if OOB. offset
v_lshrrev_b32 v17, 8, v21                          // vGWTmp = src >> 8
buffer_store_byte_d16_hi v17, v9, s[sgprSrdD:sgprSrdD+3], 0, offen, offset:0 // store D
_v_add_u32 v11, v5, 0                              // coord1 += nColPerLoad
_v_add_u32 v10, v4, 8                              // coord0 += element index of load vector
_v_add_u32 v9, v6, 0                               // offset coord1 += nColPerLoad
v_cmp_lt_u32 s[54:55], v10, s[sgprSizeI]           // coord0 < size0
v_cmp_lt_u32 s[56:57], v11, s[sgprSizeJ]           // coord1 < size1
s_and_b64 s[56:57], s[54:55], s[56:57]             // in0 && in1
v_mul_lo_u32 v9, v9, s[sgprStrideD1J]              // coord1 element offset =  coord1 * StrideD
_v_add_lshl_u32 v9, v9, v10, 0x0                   // scale to BPE
v_cndmask_b32 v9, -1, v9, s[56:57]                 // clip if OOB. offset
buffer_store_byte v22, v9, s[sgprSrdD:sgprSrdD+3], 0, offen, offset:0 // store D
_v_add_u32 v11, v5, 0                              // coord1 += nColPerLoad
_v_add_u32 v10, v4, 9                              // coord0 += element index of load vector
_v_add_u32 v9, v6, 0                               // offset coord1 += nColPerLoad
v_cmp_lt_u32 s[54:55], v10, s[sgprSizeI]           // coord0 < size0
v_cmp_lt_u32 s[56:57], v11, s[sgprSizeJ]           // coord1 < size1
s_and_b64 s[56:57], s[54:55], s[56:57]             // in0 && in1
v_mul_lo_u32 v9, v9, s[sgprStrideD1J]              // coord1 element offset =  coord1 * StrideD
_v_add_lshl_u32 v9, v9, v10, 0x0                   // scale to BPE
v_cndmask_b32 v9, -1, v9, s[56:57]                 // clip if OOB. offset
v_lshrrev_b32 v17, 8, v22                          // vGWTmp = src >> 8
buffer_store_byte v17, v9, s[sgprSrdD:sgprSrdD+3], 0, offen, offset:0 // store D
_v_add_u32 v11, v5, 0                              // coord1 += nColPerLoad
_v_add_u32 v10, v4, 10                             // coord0 += element index of load vector
_v_add_u32 v9, v6, 0                               // offset coord1 += nColPerLoad
v_cmp_lt_u32 s[54:55], v10, s[sgprSizeI]           // coord0 < size0
v_cmp_lt_u32 s[56:57], v11, s[sgprSizeJ]           // coord1 < size1
s_and_b64 s[56:57], s[54:55], s[56:57]             // in0 && in1
v_mul_lo_u32 v9, v9, s[sgprStrideD1J]              // coord1 element offset =  coord1 * StrideD
_v_add_lshl_u32 v9, v9, v10, 0x0                   // scale to BPE
v_cndmask_b32 v9, -1, v9, s[56:57]                 // clip if OOB. offset
buffer_store_byte_d16_hi v22, v9, s[sgprSrdD:sgprSrdD+3], 0, offen, offset:0 // store D
_v_add_u32 v11, v5, 0                              // coord1 += nColPerLoad
_v_add_u32 v10, v4, 11                             // coord0 += element index of load vector
_v_add_u32 v9, v6, 0                               // offset coord1 += nColPerLoad
v_cmp_lt_u32 s[54:55], v10, s[sgprSizeI]           // coord0 < size0
v_cmp_lt_u32 s[56:57], v11, s[sgprSizeJ]           // coord1 < size1
s_and_b64 s[56:57], s[54:55], s[56:57]             // in0 && in1
v_mul_lo_u32 v9, v9, s[sgprStrideD1J]              // coord1 element offset =  coord1 * StrideD
_v_add_lshl_u32 v9, v9, v10, 0x0                   // scale to BPE
v_cndmask_b32 v9, -1, v9, s[56:57]                 // clip if OOB. offset
v_lshrrev_b32 v17, 8, v22                          // vGWTmp = src >> 8
buffer_store_byte_d16_hi v17, v9, s[sgprSrdD:sgprSrdD+3], 0, offen, offset:0 // store D
_v_add_u32 v11, v5, 0                              // coord1 += nColPerLoad
_v_add_u32 v10, v4, 12                             // coord0 += element index of load vector
_v_add_u32 v9, v6, 0                               // offset coord1 += nColPerLoad
v_cmp_lt_u32 s[54:55], v10, s[sgprSizeI]           // coord0 < size0
v_cmp_lt_u32 s[56:57], v11, s[sgprSizeJ]           // coord1 < size1
s_and_b64 s[56:57], s[54:55], s[56:57]             // in0 && in1
v_mul_lo_u32 v9, v9, s[sgprStrideD1J]              // coord1 element offset =  coord1 * StrideD
_v_add_lshl_u32 v9, v9, v10, 0x0                   // scale to BPE
v_cndmask_b32 v9, -1, v9, s[56:57]                 // clip if OOB. offset
buffer_store_byte v23, v9, s[sgprSrdD:sgprSrdD+3], 0, offen, offset:0 // store D
_v_add_u32 v11, v5, 0                              // coord1 += nColPerLoad
_v_add_u32 v10, v4, 13                             // coord0 += element index of load vector
_v_add_u32 v9, v6, 0                               // offset coord1 += nColPerLoad
v_cmp_lt_u32 s[54:55], v10, s[sgprSizeI]           // coord0 < size0
v_cmp_lt_u32 s[56:57], v11, s[sgprSizeJ]           // coord1 < size1
s_and_b64 s[56:57], s[54:55], s[56:57]             // in0 && in1
v_mul_lo_u32 v9, v9, s[sgprStrideD1J]              // coord1 element offset =  coord1 * StrideD
_v_add_lshl_u32 v9, v9, v10, 0x0                   // scale to BPE
v_cndmask_b32 v9, -1, v9, s[56:57]                 // clip if OOB. offset
v_lshrrev_b32 v17, 8, v23                          // vGWTmp = src >> 8
buffer_store_byte v17, v9, s[sgprSrdD:sgprSrdD+3], 0, offen, offset:0 // store D
_v_add_u32 v11, v5, 0                              // coord1 += nColPerLoad
_v_add_u32 v10, v4, 14                             // coord0 += element index of load vector
_v_add_u32 v9, v6, 0                               // offset coord1 += nColPerLoad
v_cmp_lt_u32 s[54:55], v10, s[sgprSizeI]           // coord0 < size0
v_cmp_lt_u32 s[56:57], v11, s[sgprSizeJ]           // coord1 < size1
s_and_b64 s[56:57], s[54:55], s[56:57]             // in0 && in1
v_mul_lo_u32 v9, v9, s[sgprStrideD1J]              // coord1 element offset =  coord1 * StrideD
_v_add_lshl_u32 v9, v9, v10, 0x0                   // scale to BPE
v_cndmask_b32 v9, -1, v9, s[56:57]                 // clip if OOB. offset
buffer_store_byte_d16_hi v23, v9, s[sgprSrdD:sgprSrdD+3], 0, offen, offset:0 // store D
_v_add_u32 v11, v5, 0                              // coord1 += nColPerLoad
_v_add_u32 v10, v4, 15                             // coord0 += element index of load vector
_v_add_u32 v9, v6, 0                               // offset coord1 += nColPerLoad
v_cmp_lt_u32 s[54:55], v10, s[sgprSizeI]           // coord0 < size0
v_cmp_lt_u32 s[56:57], v11, s[sgprSizeJ]           // coord1 < size1
s_and_b64 s[56:57], s[54:55], s[56:57]             // in0 && in1
v_mul_lo_u32 v9, v9, s[sgprStrideD1J]              // coord1 element offset =  coord1 * StrideD
_v_add_lshl_u32 v9, v9, v10, 0x0                   // scale to BPE
v_cndmask_b32 v9, -1, v9, s[56:57]                 // clip if OOB. offset
v_lshrrev_b32 v17, 8, v23                          // vGWTmp = src >> 8
buffer_store_byte_d16_hi v17, v9, s[sgprSrdD:sgprSrdD+3], 0, offen, offset:0 // store D
s_waitcnt lgkmcnt(0)                               // wait for LDS read
_v_add_u32 v11, v5, 4                              // coord1 += nColPerLoad
_v_add_u32 v10, v4, 0                              // coord0 += element index of load vector
_v_add_u32 v9, v6, 4                               // offset coord1 += nColPerLoad
v_cmp_lt_u32 s[54:55], v10, s[sgprSizeI]           // coord0 < size0
v_cmp_lt_u32 s[56:57], v11, s[sgprSizeJ]           // coord1 < size1
s_and_b64 s[56:57], s[54:55], s[56:57]             // in0 && in1
v_mul_lo_u32 v9, v9, s[sgprStrideD1J]              // coord1 element offset =  coord1 * StrideD
_v_add_lshl_u32 v9, v9, v10, 0x0                   // scale to BPE
v_cndmask_b32 v9, -1, v9, s[56:57]                 // clip if OOB. offset
buffer_store_byte v24, v9, s[sgprSrdD:sgprSrdD+3], 0, offen, offset:0 // store D
_v_add_u32 v11, v5, 4                              // coord1 += nColPerLoad
_v_add_u32 v10, v4, 1                              // coord0 += element index of load vector
_v_add_u32 v9, v6, 4                               // offset coord1 += nColPerLoad
v_cmp_lt_u32 s[54:55], v10, s[sgprSizeI]           // coord0 < size0
v_cmp_lt_u32 s[56:57], v11, s[sgprSizeJ]           // coord1 < size1
s_and_b64 s[56:57], s[54:55], s[56:57]             // in0 && in1
v_mul_lo_u32 v9, v9, s[sgprStrideD1J]              // coord1 element offset =  coord1 * StrideD
_v_add_lshl_u32 v9, v9, v10, 0x0                   // scale to BPE
v_cndmask_b32 v9, -1, v9, s[56:57]                 // clip if OOB. offset
v_lshrrev_b32 v17, 8, v24                          // vGWTmp = src >> 8
buffer_store_byte v17, v9, s[sgprSrdD:sgprSrdD+3], 0, offen, offset:0 // store D
_v_add_u32 v11, v5, 4                              // coord1 += nColPerLoad
_v_add_u32 v10, v4, 2                              // coord0 += element index of load vector
_v_add_u32 v9, v6, 4                               // offset coord1 += nColPerLoad
v_cmp_lt_u32 s[54:55], v10, s[sgprSizeI]           // coord0 < size0
v_cmp_lt_u32 s[56:57], v11, s[sgprSizeJ]           // coord1 < size1
s_and_b64 s[56:57], s[54:55], s[56:57]             // in0 && in1
v_mul_lo_u32 v9, v9, s[sgprStrideD1J]              // coord1 element offset =  coord1 * StrideD
_v_add_lshl_u32 v9, v9, v10, 0x0                   // scale to BPE
v_cndmask_b32 v9, -1, v9, s[56:57]                 // clip if OOB. offset
buffer_store_byte_d16_hi v24, v9, s[sgprSrdD:sgprSrdD+3], 0, offen, offset:0 // store D
_v_add_u32 v11, v5, 4                              // coord1 += nColPerLoad
_v_add_u32 v10, v4, 3                              // coord0 += element index of load vector
_v_add_u32 v9, v6, 4                               // offset coord1 += nColPerLoad
v_cmp_lt_u32 s[54:55], v10, s[sgprSizeI]           // coord0 < size0
v_cmp_lt_u32 s[56:57], v11, s[sgprSizeJ]           // coord1 < size1
s_and_b64 s[56:57], s[54:55], s[56:57]             // in0 && in1
v_mul_lo_u32 v9, v9, s[sgprStrideD1J]              // coord1 element offset =  coord1 * StrideD
_v_add_lshl_u32 v9, v9, v10, 0x0                   // scale to BPE
v_cndmask_b32 v9, -1, v9, s[56:57]                 // clip if OOB. offset
v_lshrrev_b32 v17, 8, v24                          // vGWTmp = src >> 8
buffer_store_byte_d16_hi v17, v9, s[sgprSrdD:sgprSrdD+3], 0, offen, offset:0 // store D
_v_add_u32 v11, v5, 4                              // coord1 += nColPerLoad
_v_add_u32 v10, v4, 4                              // coord0 += element index of load vector
_v_add_u32 v9, v6, 4                               // offset coord1 += nColPerLoad
v_cmp_lt_u32 s[54:55], v10, s[sgprSizeI]           // coord0 < size0
v_cmp_lt_u32 s[56:57], v11, s[sgprSizeJ]           // coord1 < size1
s_and_b64 s[56:57], s[54:55], s[56:57]             // in0 && in1
v_mul_lo_u32 v9, v9, s[sgprStrideD1J]              // coord1 element offset =  coord1 * StrideD
_v_add_lshl_u32 v9, v9, v10, 0x0                   // scale to BPE
v_cndmask_b32 v9, -1, v9, s[56:57]                 // clip if OOB. offset
buffer_store_byte v25, v9, s[sgprSrdD:sgprSrdD+3], 0, offen, offset:0 // store D
_v_add_u32 v11, v5, 4                              // coord1 += nColPerLoad
_v_add_u32 v10, v4, 5                              // coord0 += element index of load vector
_v_add_u32 v9, v6, 4                               // offset coord1 += nColPerLoad
v_cmp_lt_u32 s[54:55], v10, s[sgprSizeI]           // coord0 < size0
v_cmp_lt_u32 s[56:57], v11, s[sgprSizeJ]           // coord1 < size1
s_and_b64 s[56:57], s[54:55], s[56:57]             // in0 && in1
v_mul_lo_u32 v9, v9, s[sgprStrideD1J]              // coord1 element offset =  coord1 * StrideD
_v_add_lshl_u32 v9, v9, v10, 0x0                   // scale to BPE
v_cndmask_b32 v9, -1, v9, s[56:57]                 // clip if OOB. offset
v_lshrrev_b32 v17, 8, v25                          // vGWTmp = src >> 8
buffer_store_byte v17, v9, s[sgprSrdD:sgprSrdD+3], 0, offen, offset:0 // store D
_v_add_u32 v11, v5, 4                              // coord1 += nColPerLoad
_v_add_u32 v10, v4, 6                              // coord0 += element index of load vector
_v_add_u32 v9, v6, 4                               // offset coord1 += nColPerLoad
v_cmp_lt_u32 s[54:55], v10, s[sgprSizeI]           // coord0 < size0
v_cmp_lt_u32 s[56:57], v11, s[sgprSizeJ]           // coord1 < size1
s_and_b64 s[56:57], s[54:55], s[56:57]             // in0 && in1
v_mul_lo_u32 v9, v9, s[sgprStrideD1J]              // coord1 element offset =  coord1 * StrideD
_v_add_lshl_u32 v9, v9, v10, 0x0                   // scale to BPE
v_cndmask_b32 v9, -1, v9, s[56:57]                 // clip if OOB. offset
buffer_store_byte_d16_hi v25, v9, s[sgprSrdD:sgprSrdD+3], 0, offen, offset:0 // store D
_v_add_u32 v11, v5, 4                              // coord1 += nColPerLoad
_v_add_u32 v10, v4, 7                              // coord0 += element index of load vector
_v_add_u32 v9, v6, 4                               // offset coord1 += nColPerLoad
v_cmp_lt_u32 s[54:55], v10, s[sgprSizeI]           // coord0 < size0
v_cmp_lt_u32 s[56:57], v11, s[sgprSizeJ]           // coord1 < size1
s_and_b64 s[56:57], s[54:55], s[56:57]             // in0 && in1
v_mul_lo_u32 v9, v9, s[sgprStrideD1J]              // coord1 element offset =  coord1 * StrideD
_v_add_lshl_u32 v9, v9, v10, 0x0                   // scale to BPE
v_cndmask_b32 v9, -1, v9, s[56:57]                 // clip if OOB. offset
v_lshrrev_b32 v17, 8, v25                          // vGWTmp = src >> 8
buffer_store_byte_d16_hi v17, v9, s[sgprSrdD:sgprSrdD+3], 0, offen, offset:0 // store D
_v_add_u32 v11, v5, 4                              // coord1 += nColPerLoad
_v_add_u32 v10, v4, 8                              // coord0 += element index of load vector
_v_add_u32 v9, v6, 4                               // offset coord1 += nColPerLoad
v_cmp_lt_u32 s[54:55], v10, s[sgprSizeI]           // coord0 < size0
v_cmp_lt_u32 s[56:57], v11, s[sgprSizeJ]           // coord1 < size1
s_and_b64 s[56:57], s[54:55], s[56:57]             // in0 && in1
v_mul_lo_u32 v9, v9, s[sgprStrideD1J]              // coord1 element offset =  coord1 * StrideD
_v_add_lshl_u32 v9, v9, v10, 0x0                   // scale to BPE
v_cndmask_b32 v9, -1, v9, s[56:57]                 // clip if OOB. offset
buffer_store_byte v26, v9, s[sgprSrdD:sgprSrdD+3], 0, offen, offset:0 // store D
_v_add_u32 v11, v5, 4                              // coord1 += nColPerLoad
_v_add_u32 v10, v4, 9                              // coord0 += element index of load vector
_v_add_u32 v9, v6, 4                               // offset coord1 += nColPerLoad
v_cmp_lt_u32 s[54:55], v10, s[sgprSizeI]           // coord0 < size0
v_cmp_lt_u32 s[56:57], v11, s[sgprSizeJ]           // coord1 < size1
s_and_b64 s[56:57], s[54:55], s[56:57]             // in0 && in1
v_mul_lo_u32 v9, v9, s[sgprStrideD1J]              // coord1 element offset =  coord1 * StrideD
_v_add_lshl_u32 v9, v9, v10, 0x0                   // scale to BPE
v_cndmask_b32 v9, -1, v9, s[56:57]                 // clip if OOB. offset
v_lshrrev_b32 v17, 8, v26                          // vGWTmp = src >> 8
buffer_store_byte v17, v9, s[sgprSrdD:sgprSrdD+3], 0, offen, offset:0 // store D
_v_add_u32 v11, v5, 4                              // coord1 += nColPerLoad
_v_add_u32 v10, v4, 10                             // coord0 += element index of load vector
_v_add_u32 v9, v6, 4                               // offset coord1 += nColPerLoad
v_cmp_lt_u32 s[54:55], v10, s[sgprSizeI]           // coord0 < size0
v_cmp_lt_u32 s[56:57], v11, s[sgprSizeJ]           // coord1 < size1
s_and_b64 s[56:57], s[54:55], s[56:57]             // in0 && in1
v_mul_lo_u32 v9, v9, s[sgprStrideD1J]              // coord1 element offset =  coord1 * StrideD
_v_add_lshl_u32 v9, v9, v10, 0x0                   // scale to BPE
v_cndmask_b32 v9, -1, v9, s[56:57]                 // clip if OOB. offset
buffer_store_byte_d16_hi v26, v9, s[sgprSrdD:sgprSrdD+3], 0, offen, offset:0 // store D
_v_add_u32 v11, v5, 4                              // coord1 += nColPerLoad
_v_add_u32 v10, v4, 11                             // coord0 += element index of load vector
_v_add_u32 v9, v6, 4                               // offset coord1 += nColPerLoad
v_cmp_lt_u32 s[54:55], v10, s[sgprSizeI]           // coord0 < size0
v_cmp_lt_u32 s[56:57], v11, s[sgprSizeJ]           // coord1 < size1
s_and_b64 s[56:57], s[54:55], s[56:57]             // in0 && in1
v_mul_lo_u32 v9, v9, s[sgprStrideD1J]              // coord1 element offset =  coord1 * StrideD
_v_add_lshl_u32 v9, v9, v10, 0x0                   // scale to BPE
v_cndmask_b32 v9, -1, v9, s[56:57]                 // clip if OOB. offset
v_lshrrev_b32 v17, 8, v26                          // vGWTmp = src >> 8
buffer_store_byte_d16_hi v17, v9, s[sgprSrdD:sgprSrdD+3], 0, offen, offset:0 // store D
_v_add_u32 v11, v5, 4                              // coord1 += nColPerLoad
_v_add_u32 v10, v4, 12                             // coord0 += element index of load vector
_v_add_u32 v9, v6, 4                               // offset coord1 += nColPerLoad
v_cmp_lt_u32 s[54:55], v10, s[sgprSizeI]           // coord0 < size0
v_cmp_lt_u32 s[56:57], v11, s[sgprSizeJ]           // coord1 < size1
s_and_b64 s[56:57], s[54:55], s[56:57]             // in0 && in1
v_mul_lo_u32 v9, v9, s[sgprStrideD1J]              // coord1 element offset =  coord1 * StrideD
_v_add_lshl_u32 v9, v9, v10, 0x0                   // scale to BPE
v_cndmask_b32 v9, -1, v9, s[56:57]                 // clip if OOB. offset
buffer_store_byte v27, v9, s[sgprSrdD:sgprSrdD+3], 0, offen, offset:0 // store D
_v_add_u32 v11, v5, 4                              // coord1 += nColPerLoad
_v_add_u32 v10, v4, 13                             // coord0 += element index of load vector
_v_add_u32 v9, v6, 4                               // offset coord1 += nColPerLoad
v_cmp_lt_u32 s[54:55], v10, s[sgprSizeI]           // coord0 < size0
v_cmp_lt_u32 s[56:57], v11, s[sgprSizeJ]           // coord1 < size1
s_and_b64 s[56:57], s[54:55], s[56:57]             // in0 && in1
v_mul_lo_u32 v9, v9, s[sgprStrideD1J]              // coord1 element offset =  coord1 * StrideD
_v_add_lshl_u32 v9, v9, v10, 0x0                   // scale to BPE
v_cndmask_b32 v9, -1, v9, s[56:57]                 // clip if OOB. offset
v_lshrrev_b32 v17, 8, v27                          // vGWTmp = src >> 8
buffer_store_byte v17, v9, s[sgprSrdD:sgprSrdD+3], 0, offen, offset:0 // store D
_v_add_u32 v11, v5, 4                              // coord1 += nColPerLoad
_v_add_u32 v10, v4, 14                             // coord0 += element index of load vector
_v_add_u32 v9, v6, 4                               // offset coord1 += nColPerLoad
v_cmp_lt_u32 s[54:55], v10, s[sgprSizeI]           // coord0 < size0
v_cmp_lt_u32 s[56:57], v11, s[sgprSizeJ]           // coord1 < size1
s_and_b64 s[56:57], s[54:55], s[56:57]             // in0 && in1
v_mul_lo_u32 v9, v9, s[sgprStrideD1J]              // coord1 element offset =  coord1 * StrideD
_v_add_lshl_u32 v9, v9, v10, 0x0                   // scale to BPE
v_cndmask_b32 v9, -1, v9, s[56:57]                 // clip if OOB. offset
buffer_store_byte_d16_hi v27, v9, s[sgprSrdD:sgprSrdD+3], 0, offen, offset:0 // store D
_v_add_u32 v11, v5, 4                              // coord1 += nColPerLoad
_v_add_u32 v10, v4, 15                             // coord0 += element index of load vector
_v_add_u32 v9, v6, 4                               // offset coord1 += nColPerLoad
v_cmp_lt_u32 s[54:55], v10, s[sgprSizeI]           // coord0 < size0
v_cmp_lt_u32 s[56:57], v11, s[sgprSizeJ]           // coord1 < size1
s_and_b64 s[56:57], s[54:55], s[56:57]             // in0 && in1
v_mul_lo_u32 v9, v9, s[sgprStrideD1J]              // coord1 element offset =  coord1 * StrideD
_v_add_lshl_u32 v9, v9, v10, 0x0                   // scale to BPE
v_cndmask_b32 v9, -1, v9, s[56:57]                 // clip if OOB. offset
v_lshrrev_b32 v17, 8, v27                          // vGWTmp = src >> 8
buffer_store_byte_d16_hi v17, v9, s[sgprSrdD:sgprSrdD+3], 0, offen, offset:0 // store D

s_barrier //wait all lds read finished
s_nop 0                                            // 1 wait state required when next inst writes vgprs held by previous dwordx4 store inst
/* optSingleColVgpr=0 optSharedColVgpr=0 optSGPRUsage=BufferLoad_Edge_Mask optSrdIncForRow=1 */

/******************************************/
/* Global Write Alpha Edge Batch #5 (d1,d0,vc1,vc0) = */
/*    (5,0,0,0:vw4); (5,1,0,0:vw4); (5,2,0,0:vw4); (5,3,0,0:vw4); (5,4,0,0:vw4); (5,5,0,0:vw4); (5,6,0,0:vw4); (5,7,0,0:vw4) */
/******************************************/

/* calc coords, apply mask, and issue loads (if necessary) */
/* (d1,vc1,d0,vc0)=(5,0,0,0) */
_v_add_co_u32 v1, vcc, v1, 32                      // coord1.1: coord1Vgpr += d1*sg1*VW + vc1
_v_add_lshl_u32 v9, v3, v0, 0x0                    // scaleToBpe: accumulate d0 lower and *= bpe into Cin addr
/* (d1,vc1,d0,vc0)=(5,0,1,0) */
_v_add_co_u32 v10, vcc, v0, 8                      // coord0.1: coord0 += d0*sg0*VW + vc0
_v_add_lshl_u32 v17, v3, v10, 0x0                  // scaleToBpe: accumulate d0 lower and *= bpe into Cin addr
/* (d1,vc1,d0,vc0)=(5,0,2,0) */
_v_add_co_u32 v10, vcc, v0, 16                     // coord0.1: coord0 += d0*sg0*VW + vc0
_v_add_lshl_u32 v18, v3, v10, 0x0                  // scaleToBpe: accumulate d0 lower and *= bpe into Cin addr
/* (d1,vc1,d0,vc0)=(5,0,3,0) */
_v_add_co_u32 v10, vcc, v0, 24                     // coord0.1: coord0 += d0*sg0*VW + vc0
_v_add_lshl_u32 v19, v3, v10, 0x0                  // scaleToBpe: accumulate d0 lower and *= bpe into Cin addr
/* (d1,vc1,d0,vc0)=(5,0,4,0) */
s_mov_b32 s54, 128                                 // coordOffset0 d0=4 vc0=0
_v_add_co_u32 v10, vcc, v0, s54                    // coord0.2: coord0 += d0*sg0*VW + vc0
_v_add_lshl_u32 v36, v3, v10, 0x0                  // scaleToBpe: accumulate d0 lower and *= bpe into Cin addr
/* (d1,vc1,d0,vc0)=(5,0,5,0) */
s_mov_b32 s54, 136                                 // coordOffset0 d0=5 vc0=0
_v_add_co_u32 v10, vcc, v0, s54                    // coord0.2: coord0 += d0*sg0*VW + vc0
	;; [unrolled: 4-line block ×4, first 2 shown]
_v_add_lshl_u32 v39, v3, v10, 0x0                  // scaleToBpe: accumulate d0 lower and *= bpe into Cin addr
v_accvgpr_read_b32 v[vgprValuC+20], acc160 // copy acc to vreg[160]
v_accvgpr_read_b32 v[vgprValuC+21], acc161 // copy acc to vreg[161]
v_accvgpr_read_b32 v[vgprValuC+22], acc162 // copy acc to vreg[162]
v_accvgpr_read_b32 v[vgprValuC+23], acc163 // copy acc to vreg[163]
v_accvgpr_read_b32 v[vgprValuC+24], acc164 // copy acc to vreg[164]
v_accvgpr_read_b32 v[vgprValuC+25], acc165 // copy acc to vreg[165]
v_accvgpr_read_b32 v[vgprValuC+26], acc166 // copy acc to vreg[166]
v_accvgpr_read_b32 v[vgprValuC+27], acc167 // copy acc to vreg[167]
v_accvgpr_read_b32 v[vgprValuC+28], acc168 // copy acc to vreg[168]
v_accvgpr_read_b32 v[vgprValuC+29], acc169 // copy acc to vreg[169]
v_accvgpr_read_b32 v[vgprValuC+30], acc170 // copy acc to vreg[170]
v_accvgpr_read_b32 v[vgprValuC+31], acc171 // copy acc to vreg[171]
v_accvgpr_read_b32 v[vgprValuC+32], acc172 // copy acc to vreg[172]
v_accvgpr_read_b32 v[vgprValuC+33], acc173 // copy acc to vreg[173]
v_accvgpr_read_b32 v[vgprValuC+34], acc174 // copy acc to vreg[174]
v_accvgpr_read_b32 v[vgprValuC+35], acc175 // copy acc to vreg[175]
v_accvgpr_read_b32 v[vgprValuC+40], acc176 // copy acc to vreg[176]
v_accvgpr_read_b32 v[vgprValuC+41], acc177 // copy acc to vreg[177]
v_accvgpr_read_b32 v[vgprValuC+42], acc178 // copy acc to vreg[178]
v_accvgpr_read_b32 v[vgprValuC+43], acc179 // copy acc to vreg[179]
v_accvgpr_read_b32 v[vgprValuC+44], acc180 // copy acc to vreg[180]
v_accvgpr_read_b32 v[vgprValuC+45], acc181 // copy acc to vreg[181]
v_accvgpr_read_b32 v[vgprValuC+46], acc182 // copy acc to vreg[182]
v_accvgpr_read_b32 v[vgprValuC+47], acc183 // copy acc to vreg[183]
v_accvgpr_read_b32 v[vgprValuC+48], acc184 // copy acc to vreg[184]
v_accvgpr_read_b32 v[vgprValuC+49], acc185 // copy acc to vreg[185]
v_accvgpr_read_b32 v[vgprValuC+50], acc186 // copy acc to vreg[186]
v_accvgpr_read_b32 v[vgprValuC+51], acc187 // copy acc to vreg[187]
v_accvgpr_read_b32 v[vgprValuC+52], acc188 // copy acc to vreg[188]
v_accvgpr_read_b32 v[vgprValuC+53], acc189 // copy acc to vreg[189]
v_accvgpr_read_b32 v[vgprValuC+54], acc190 // copy acc to vreg[190]
v_accvgpr_read_b32 v[vgprValuC+55], acc191 // copy acc to vreg[191]
s_nop 1                                            // 2 wait states required before reading vgpr

/* rC *= alpha batchElements=[(5, 0, 0, 0), (5, 1, 0, 0), (5, 2, 0, 0), (5, 3, 0, 0), (5, 4, 0, 0), (5, 5, 0, 0), (5, 6, 0, 0), (5, 7, 0, 0)] */
v_mul_f32 v[vgprValuC+20], s[sgprAlpha], v[vgprValuC+20] // *= alpha
v_mul_f32 v[vgprValuC+21], s[sgprAlpha], v[vgprValuC+21] // *= alpha
	;; [unrolled: 1-line block ×32, first 2 shown]

/* apply mask, calc new C and issue writes */
v_mov_b32 v16, 0x207                               // flag for Nan and +/- inf
v_mov_b32 v14, 0x43700000                          // save 240.0f as max for clipping
v_mov_b32 v15, 0xC3700000                          // save -240.0f as min for clipping

/* StoreRemap: shift coord1 address */
s_mul_i32 s54, s[sgprStrideD1J], 32                // scale StrideD *= numRows(32) * bpe
s_add_u32  s[sgprSrdD+0], s[sgprSrdD+0], s54       // incToNextRow: gra SRD += inc(lower)
s_addc_u32  s[sgprSrdD+1], s[sgprSrdD+1], 0        // incToNextRow: gra SRD += inc(upper)
v_mov_b32 v10, 32                                  // set shift rows
_v_add_u32 v5, v5, v10                             // shift storeRemap coord1
v_cmp_class_f32 s[54:55], v[vgprValuC+20], v16     // check NaN and +/-INF
v_med3_f32 v12, v[vgprValuC+20], v14, v15          // Clipping f32 value if exceeds the limit
v_cndmask_b32 v12, v12, v[vgprValuC+20], s[54:55]  // 
v_cmp_class_f32 s[54:55], v[vgprValuC+21], v16     // check NaN and +/-INF
v_med3_f32 v13, v[vgprValuC+21], v14, v15          // Clipping f32 value if exceeds the limit
v_cndmask_b32 v13, v13, v[vgprValuC+21], s[54:55]  // 
v_cvt_pk_fp8_f32  v20, v12, v13 op_sel:[0,0,0]     // convert two f32 accumulated values to fp8 and save it to lo_16[0:15]
v_cmp_class_f32 s[54:55], v[vgprValuC+22], v16     // check NaN and +/-INF
v_med3_f32 v12, v[vgprValuC+22], v14, v15          // Clipping f32 value if exceeds the limit
v_cndmask_b32 v12, v12, v[vgprValuC+22], s[54:55]  // 
v_cmp_class_f32 s[54:55], v[vgprValuC+23], v16     // check NaN and +/-INF
v_med3_f32 v13, v[vgprValuC+23], v14, v15          // Clipping f32 value if exceeds the limit
v_cndmask_b32 v13, v13, v[vgprValuC+23], s[54:55]  // 
v_cvt_pk_fp8_f32  v20, v12, v13 op_sel:[0,0,1]     // convert two f32 accumulated values to fp8 and save it to hi_16[16:31]
_ds_store_b32 v7, v20, offset:0                    // storeRemap lw
v_cmp_class_f32 s[54:55], v[vgprValuC+24], v16     // check NaN and +/-INF
v_med3_f32 v12, v[vgprValuC+24], v14, v15          // Clipping f32 value if exceeds the limit
v_cndmask_b32 v12, v12, v[vgprValuC+24], s[54:55]  // 
v_cmp_class_f32 s[54:55], v[vgprValuC+25], v16     // check NaN and +/-INF
v_med3_f32 v13, v[vgprValuC+25], v14, v15          // Clipping f32 value if exceeds the limit
v_cndmask_b32 v13, v13, v[vgprValuC+25], s[54:55]  // 
v_cvt_pk_fp8_f32  v24, v12, v13 op_sel:[0,0,0]     // convert two f32 accumulated values to fp8 and save it to lo_16[0:15]
v_cmp_class_f32 s[54:55], v[vgprValuC+26], v16     // check NaN and +/-INF
v_med3_f32 v12, v[vgprValuC+26], v14, v15          // Clipping f32 value if exceeds the limit
v_cndmask_b32 v12, v12, v[vgprValuC+26], s[54:55]  // 
v_cmp_class_f32 s[54:55], v[vgprValuC+27], v16     // check NaN and +/-INF
v_med3_f32 v13, v[vgprValuC+27], v14, v15          // Clipping f32 value if exceeds the limit
v_cndmask_b32 v13, v13, v[vgprValuC+27], s[54:55]  // 
v_cvt_pk_fp8_f32  v24, v12, v13 op_sel:[0,0,1]     // convert two f32 accumulated values to fp8 and save it to hi_16[16:31]
_ds_store_b32 v7, v24, offset:8                    // storeRemap lw
v_cmp_class_f32 s[54:55], v[vgprValuC+28], v16     // check NaN and +/-INF
v_med3_f32 v12, v[vgprValuC+28], v14, v15          // Clipping f32 value if exceeds the limit
v_cndmask_b32 v12, v12, v[vgprValuC+28], s[54:55]  // 
v_cmp_class_f32 s[54:55], v[vgprValuC+29], v16     // check NaN and +/-INF
v_med3_f32 v13, v[vgprValuC+29], v14, v15          // Clipping f32 value if exceeds the limit
v_cndmask_b32 v13, v13, v[vgprValuC+29], s[54:55]  // 
v_cvt_pk_fp8_f32  v28, v12, v13 op_sel:[0,0,0]     // convert two f32 accumulated values to fp8 and save it to lo_16[0:15]
v_cmp_class_f32 s[54:55], v[vgprValuC+30], v16     // check NaN and +/-INF
v_med3_f32 v12, v[vgprValuC+30], v14, v15          // Clipping f32 value if exceeds the limit
v_cndmask_b32 v12, v12, v[vgprValuC+30], s[54:55]  // 
v_cmp_class_f32 s[54:55], v[vgprValuC+31], v16     // check NaN and +/-INF
v_med3_f32 v13, v[vgprValuC+31], v14, v15          // Clipping f32 value if exceeds the limit
v_cndmask_b32 v13, v13, v[vgprValuC+31], s[54:55]  // 
v_cvt_pk_fp8_f32  v28, v12, v13 op_sel:[0,0,1]     // convert two f32 accumulated values to fp8 and save it to hi_16[16:31]
_ds_store_b32 v7, v28, offset:16                   // storeRemap lw
v_cmp_class_f32 s[54:55], v[vgprValuC+32], v16     // check NaN and +/-INF
v_med3_f32 v12, v[vgprValuC+32], v14, v15          // Clipping f32 value if exceeds the limit
v_cndmask_b32 v12, v12, v[vgprValuC+32], s[54:55]  // 
v_cmp_class_f32 s[54:55], v[vgprValuC+33], v16     // check NaN and +/-INF
v_med3_f32 v13, v[vgprValuC+33], v14, v15          // Clipping f32 value if exceeds the limit
v_cndmask_b32 v13, v13, v[vgprValuC+33], s[54:55]  // 
v_cvt_pk_fp8_f32  v32, v12, v13 op_sel:[0,0,0]     // convert two f32 accumulated values to fp8 and save it to lo_16[0:15]
v_cmp_class_f32 s[54:55], v[vgprValuC+34], v16     // check NaN and +/-INF
v_med3_f32 v12, v[vgprValuC+34], v14, v15          // Clipping f32 value if exceeds the limit
v_cndmask_b32 v12, v12, v[vgprValuC+34], s[54:55]  // 
v_cmp_class_f32 s[54:55], v[vgprValuC+35], v16     // check NaN and +/-INF
v_med3_f32 v13, v[vgprValuC+35], v14, v15          // Clipping f32 value if exceeds the limit
v_cndmask_b32 v13, v13, v[vgprValuC+35], s[54:55]  // 
v_cvt_pk_fp8_f32  v32, v12, v13 op_sel:[0,0,1]     // convert two f32 accumulated values to fp8 and save it to hi_16[16:31]
_ds_store_b32 v7, v32, offset:24                   // storeRemap lw
v_cmp_class_f32 s[54:55], v[vgprValuC+40], v16     // check NaN and +/-INF
v_med3_f32 v12, v[vgprValuC+40], v14, v15          // Clipping f32 value if exceeds the limit
v_cndmask_b32 v12, v12, v[vgprValuC+40], s[54:55]  // 
v_cmp_class_f32 s[54:55], v[vgprValuC+41], v16     // check NaN and +/-INF
v_med3_f32 v13, v[vgprValuC+41], v14, v15          // Clipping f32 value if exceeds the limit
v_cndmask_b32 v13, v13, v[vgprValuC+41], s[54:55]  // 
v_cvt_pk_fp8_f32  v40, v12, v13 op_sel:[0,0,0]     // convert two f32 accumulated values to fp8 and save it to lo_16[0:15]
v_cmp_class_f32 s[54:55], v[vgprValuC+42], v16     // check NaN and +/-INF
v_med3_f32 v12, v[vgprValuC+42], v14, v15          // Clipping f32 value if exceeds the limit
v_cndmask_b32 v12, v12, v[vgprValuC+42], s[54:55]  // 
v_cmp_class_f32 s[54:55], v[vgprValuC+43], v16     // check NaN and +/-INF
v_med3_f32 v13, v[vgprValuC+43], v14, v15          // Clipping f32 value if exceeds the limit
v_cndmask_b32 v13, v13, v[vgprValuC+43], s[54:55]  // 
v_cvt_pk_fp8_f32  v40, v12, v13 op_sel:[0,0,1]     // convert two f32 accumulated values to fp8 and save it to hi_16[16:31]
_ds_store_b32 v7, v40, offset:128                  // storeRemap lw
v_cmp_class_f32 s[54:55], v[vgprValuC+44], v16     // check NaN and +/-INF
v_med3_f32 v12, v[vgprValuC+44], v14, v15          // Clipping f32 value if exceeds the limit
v_cndmask_b32 v12, v12, v[vgprValuC+44], s[54:55]  // 
v_cmp_class_f32 s[54:55], v[vgprValuC+45], v16     // check NaN and +/-INF
v_med3_f32 v13, v[vgprValuC+45], v14, v15          // Clipping f32 value if exceeds the limit
v_cndmask_b32 v13, v13, v[vgprValuC+45], s[54:55]  // 
v_cvt_pk_fp8_f32  v44, v12, v13 op_sel:[0,0,0]     // convert two f32 accumulated values to fp8 and save it to lo_16[0:15]
v_cmp_class_f32 s[54:55], v[vgprValuC+46], v16     // check NaN and +/-INF
v_med3_f32 v12, v[vgprValuC+46], v14, v15          // Clipping f32 value if exceeds the limit
v_cndmask_b32 v12, v12, v[vgprValuC+46], s[54:55]  // 
v_cmp_class_f32 s[54:55], v[vgprValuC+47], v16     // check NaN and +/-INF
v_med3_f32 v13, v[vgprValuC+47], v14, v15          // Clipping f32 value if exceeds the limit
v_cndmask_b32 v13, v13, v[vgprValuC+47], s[54:55]  // 
v_cvt_pk_fp8_f32  v44, v12, v13 op_sel:[0,0,1]     // convert two f32 accumulated values to fp8 and save it to hi_16[16:31]
_ds_store_b32 v7, v44, offset:136                  // storeRemap lw
	;; [unrolled: 15-line block ×4, first 2 shown]

/* Handle local read and global write */
s_waitcnt lgkmcnt(0)                               // wait for LDS write
s_barrier //wait all lds write finished

_ds_load_b128 v[20:23], v8, offset:0               // storeRemap lr
_ds_load_b128 v[24:27], v8, offset:1088            // storeRemap lr

s_waitcnt lgkmcnt(1)                               // wait for LDS read
_v_add_u32 v11, v5, 0                              // coord1 += nColPerLoad
_v_add_u32 v10, v4, 0                              // coord0 += element index of load vector
_v_add_u32 v9, v6, 0                               // offset coord1 += nColPerLoad
v_cmp_lt_u32 s[54:55], v10, s[sgprSizeI]           // coord0 < size0
v_cmp_lt_u32 s[56:57], v11, s[sgprSizeJ]           // coord1 < size1
s_and_b64 s[56:57], s[54:55], s[56:57]             // in0 && in1
v_mul_lo_u32 v9, v9, s[sgprStrideD1J]              // coord1 element offset =  coord1 * StrideD
_v_add_lshl_u32 v9, v9, v10, 0x0                   // scale to BPE
v_cndmask_b32 v9, -1, v9, s[56:57]                 // clip if OOB. offset
buffer_store_byte v20, v9, s[sgprSrdD:sgprSrdD+3], 0, offen, offset:0 // store D
_v_add_u32 v11, v5, 0                              // coord1 += nColPerLoad
_v_add_u32 v10, v4, 1                              // coord0 += element index of load vector
_v_add_u32 v9, v6, 0                               // offset coord1 += nColPerLoad
v_cmp_lt_u32 s[54:55], v10, s[sgprSizeI]           // coord0 < size0
v_cmp_lt_u32 s[56:57], v11, s[sgprSizeJ]           // coord1 < size1
s_and_b64 s[56:57], s[54:55], s[56:57]             // in0 && in1
v_mul_lo_u32 v9, v9, s[sgprStrideD1J]              // coord1 element offset =  coord1 * StrideD
_v_add_lshl_u32 v9, v9, v10, 0x0                   // scale to BPE
v_cndmask_b32 v9, -1, v9, s[56:57]                 // clip if OOB. offset
v_lshrrev_b32 v17, 8, v20                          // vGWTmp = src >> 8
buffer_store_byte v17, v9, s[sgprSrdD:sgprSrdD+3], 0, offen, offset:0 // store D
_v_add_u32 v11, v5, 0                              // coord1 += nColPerLoad
_v_add_u32 v10, v4, 2                              // coord0 += element index of load vector
_v_add_u32 v9, v6, 0                               // offset coord1 += nColPerLoad
v_cmp_lt_u32 s[54:55], v10, s[sgprSizeI]           // coord0 < size0
v_cmp_lt_u32 s[56:57], v11, s[sgprSizeJ]           // coord1 < size1
s_and_b64 s[56:57], s[54:55], s[56:57]             // in0 && in1
v_mul_lo_u32 v9, v9, s[sgprStrideD1J]              // coord1 element offset =  coord1 * StrideD
_v_add_lshl_u32 v9, v9, v10, 0x0                   // scale to BPE
v_cndmask_b32 v9, -1, v9, s[56:57]                 // clip if OOB. offset
buffer_store_byte_d16_hi v20, v9, s[sgprSrdD:sgprSrdD+3], 0, offen, offset:0 // store D
_v_add_u32 v11, v5, 0                              // coord1 += nColPerLoad
_v_add_u32 v10, v4, 3                              // coord0 += element index of load vector
_v_add_u32 v9, v6, 0                               // offset coord1 += nColPerLoad
v_cmp_lt_u32 s[54:55], v10, s[sgprSizeI]           // coord0 < size0
v_cmp_lt_u32 s[56:57], v11, s[sgprSizeJ]           // coord1 < size1
s_and_b64 s[56:57], s[54:55], s[56:57]             // in0 && in1
v_mul_lo_u32 v9, v9, s[sgprStrideD1J]              // coord1 element offset =  coord1 * StrideD
_v_add_lshl_u32 v9, v9, v10, 0x0                   // scale to BPE
v_cndmask_b32 v9, -1, v9, s[56:57]                 // clip if OOB. offset
v_lshrrev_b32 v17, 8, v20                          // vGWTmp = src >> 8
buffer_store_byte_d16_hi v17, v9, s[sgprSrdD:sgprSrdD+3], 0, offen, offset:0 // store D
_v_add_u32 v11, v5, 0                              // coord1 += nColPerLoad
_v_add_u32 v10, v4, 4                              // coord0 += element index of load vector
_v_add_u32 v9, v6, 0                               // offset coord1 += nColPerLoad
v_cmp_lt_u32 s[54:55], v10, s[sgprSizeI]           // coord0 < size0
v_cmp_lt_u32 s[56:57], v11, s[sgprSizeJ]           // coord1 < size1
s_and_b64 s[56:57], s[54:55], s[56:57]             // in0 && in1
v_mul_lo_u32 v9, v9, s[sgprStrideD1J]              // coord1 element offset =  coord1 * StrideD
_v_add_lshl_u32 v9, v9, v10, 0x0                   // scale to BPE
v_cndmask_b32 v9, -1, v9, s[56:57]                 // clip if OOB. offset
buffer_store_byte v21, v9, s[sgprSrdD:sgprSrdD+3], 0, offen, offset:0 // store D
_v_add_u32 v11, v5, 0                              // coord1 += nColPerLoad
_v_add_u32 v10, v4, 5                              // coord0 += element index of load vector
_v_add_u32 v9, v6, 0                               // offset coord1 += nColPerLoad
v_cmp_lt_u32 s[54:55], v10, s[sgprSizeI]           // coord0 < size0
v_cmp_lt_u32 s[56:57], v11, s[sgprSizeJ]           // coord1 < size1
s_and_b64 s[56:57], s[54:55], s[56:57]             // in0 && in1
v_mul_lo_u32 v9, v9, s[sgprStrideD1J]              // coord1 element offset =  coord1 * StrideD
_v_add_lshl_u32 v9, v9, v10, 0x0                   // scale to BPE
v_cndmask_b32 v9, -1, v9, s[56:57]                 // clip if OOB. offset
v_lshrrev_b32 v17, 8, v21                          // vGWTmp = src >> 8
buffer_store_byte v17, v9, s[sgprSrdD:sgprSrdD+3], 0, offen, offset:0 // store D
_v_add_u32 v11, v5, 0                              // coord1 += nColPerLoad
_v_add_u32 v10, v4, 6                              // coord0 += element index of load vector
_v_add_u32 v9, v6, 0                               // offset coord1 += nColPerLoad
v_cmp_lt_u32 s[54:55], v10, s[sgprSizeI]           // coord0 < size0
v_cmp_lt_u32 s[56:57], v11, s[sgprSizeJ]           // coord1 < size1
s_and_b64 s[56:57], s[54:55], s[56:57]             // in0 && in1
v_mul_lo_u32 v9, v9, s[sgprStrideD1J]              // coord1 element offset =  coord1 * StrideD
_v_add_lshl_u32 v9, v9, v10, 0x0                   // scale to BPE
v_cndmask_b32 v9, -1, v9, s[56:57]                 // clip if OOB. offset
buffer_store_byte_d16_hi v21, v9, s[sgprSrdD:sgprSrdD+3], 0, offen, offset:0 // store D
_v_add_u32 v11, v5, 0                              // coord1 += nColPerLoad
_v_add_u32 v10, v4, 7                              // coord0 += element index of load vector
_v_add_u32 v9, v6, 0                               // offset coord1 += nColPerLoad
v_cmp_lt_u32 s[54:55], v10, s[sgprSizeI]           // coord0 < size0
v_cmp_lt_u32 s[56:57], v11, s[sgprSizeJ]           // coord1 < size1
s_and_b64 s[56:57], s[54:55], s[56:57]             // in0 && in1
v_mul_lo_u32 v9, v9, s[sgprStrideD1J]              // coord1 element offset =  coord1 * StrideD
_v_add_lshl_u32 v9, v9, v10, 0x0                   // scale to BPE
v_cndmask_b32 v9, -1, v9, s[56:57]                 // clip if OOB. offset
v_lshrrev_b32 v17, 8, v21                          // vGWTmp = src >> 8
buffer_store_byte_d16_hi v17, v9, s[sgprSrdD:sgprSrdD+3], 0, offen, offset:0 // store D
_v_add_u32 v11, v5, 0                              // coord1 += nColPerLoad
_v_add_u32 v10, v4, 8                              // coord0 += element index of load vector
_v_add_u32 v9, v6, 0                               // offset coord1 += nColPerLoad
v_cmp_lt_u32 s[54:55], v10, s[sgprSizeI]           // coord0 < size0
v_cmp_lt_u32 s[56:57], v11, s[sgprSizeJ]           // coord1 < size1
s_and_b64 s[56:57], s[54:55], s[56:57]             // in0 && in1
v_mul_lo_u32 v9, v9, s[sgprStrideD1J]              // coord1 element offset =  coord1 * StrideD
_v_add_lshl_u32 v9, v9, v10, 0x0                   // scale to BPE
v_cndmask_b32 v9, -1, v9, s[56:57]                 // clip if OOB. offset
buffer_store_byte v22, v9, s[sgprSrdD:sgprSrdD+3], 0, offen, offset:0 // store D
_v_add_u32 v11, v5, 0                              // coord1 += nColPerLoad
_v_add_u32 v10, v4, 9                              // coord0 += element index of load vector
_v_add_u32 v9, v6, 0                               // offset coord1 += nColPerLoad
v_cmp_lt_u32 s[54:55], v10, s[sgprSizeI]           // coord0 < size0
v_cmp_lt_u32 s[56:57], v11, s[sgprSizeJ]           // coord1 < size1
s_and_b64 s[56:57], s[54:55], s[56:57]             // in0 && in1
v_mul_lo_u32 v9, v9, s[sgprStrideD1J]              // coord1 element offset =  coord1 * StrideD
_v_add_lshl_u32 v9, v9, v10, 0x0                   // scale to BPE
v_cndmask_b32 v9, -1, v9, s[56:57]                 // clip if OOB. offset
v_lshrrev_b32 v17, 8, v22                          // vGWTmp = src >> 8
buffer_store_byte v17, v9, s[sgprSrdD:sgprSrdD+3], 0, offen, offset:0 // store D
_v_add_u32 v11, v5, 0                              // coord1 += nColPerLoad
_v_add_u32 v10, v4, 10                             // coord0 += element index of load vector
_v_add_u32 v9, v6, 0                               // offset coord1 += nColPerLoad
v_cmp_lt_u32 s[54:55], v10, s[sgprSizeI]           // coord0 < size0
v_cmp_lt_u32 s[56:57], v11, s[sgprSizeJ]           // coord1 < size1
s_and_b64 s[56:57], s[54:55], s[56:57]             // in0 && in1
v_mul_lo_u32 v9, v9, s[sgprStrideD1J]              // coord1 element offset =  coord1 * StrideD
_v_add_lshl_u32 v9, v9, v10, 0x0                   // scale to BPE
v_cndmask_b32 v9, -1, v9, s[56:57]                 // clip if OOB. offset
buffer_store_byte_d16_hi v22, v9, s[sgprSrdD:sgprSrdD+3], 0, offen, offset:0 // store D
_v_add_u32 v11, v5, 0                              // coord1 += nColPerLoad
_v_add_u32 v10, v4, 11                             // coord0 += element index of load vector
_v_add_u32 v9, v6, 0                               // offset coord1 += nColPerLoad
v_cmp_lt_u32 s[54:55], v10, s[sgprSizeI]           // coord0 < size0
v_cmp_lt_u32 s[56:57], v11, s[sgprSizeJ]           // coord1 < size1
s_and_b64 s[56:57], s[54:55], s[56:57]             // in0 && in1
v_mul_lo_u32 v9, v9, s[sgprStrideD1J]              // coord1 element offset =  coord1 * StrideD
_v_add_lshl_u32 v9, v9, v10, 0x0                   // scale to BPE
v_cndmask_b32 v9, -1, v9, s[56:57]                 // clip if OOB. offset
v_lshrrev_b32 v17, 8, v22                          // vGWTmp = src >> 8
buffer_store_byte_d16_hi v17, v9, s[sgprSrdD:sgprSrdD+3], 0, offen, offset:0 // store D
_v_add_u32 v11, v5, 0                              // coord1 += nColPerLoad
_v_add_u32 v10, v4, 12                             // coord0 += element index of load vector
_v_add_u32 v9, v6, 0                               // offset coord1 += nColPerLoad
v_cmp_lt_u32 s[54:55], v10, s[sgprSizeI]           // coord0 < size0
v_cmp_lt_u32 s[56:57], v11, s[sgprSizeJ]           // coord1 < size1
s_and_b64 s[56:57], s[54:55], s[56:57]             // in0 && in1
v_mul_lo_u32 v9, v9, s[sgprStrideD1J]              // coord1 element offset =  coord1 * StrideD
_v_add_lshl_u32 v9, v9, v10, 0x0                   // scale to BPE
v_cndmask_b32 v9, -1, v9, s[56:57]                 // clip if OOB. offset
buffer_store_byte v23, v9, s[sgprSrdD:sgprSrdD+3], 0, offen, offset:0 // store D
_v_add_u32 v11, v5, 0                              // coord1 += nColPerLoad
_v_add_u32 v10, v4, 13                             // coord0 += element index of load vector
_v_add_u32 v9, v6, 0                               // offset coord1 += nColPerLoad
v_cmp_lt_u32 s[54:55], v10, s[sgprSizeI]           // coord0 < size0
v_cmp_lt_u32 s[56:57], v11, s[sgprSizeJ]           // coord1 < size1
s_and_b64 s[56:57], s[54:55], s[56:57]             // in0 && in1
v_mul_lo_u32 v9, v9, s[sgprStrideD1J]              // coord1 element offset =  coord1 * StrideD
_v_add_lshl_u32 v9, v9, v10, 0x0                   // scale to BPE
v_cndmask_b32 v9, -1, v9, s[56:57]                 // clip if OOB. offset
v_lshrrev_b32 v17, 8, v23                          // vGWTmp = src >> 8
buffer_store_byte v17, v9, s[sgprSrdD:sgprSrdD+3], 0, offen, offset:0 // store D
_v_add_u32 v11, v5, 0                              // coord1 += nColPerLoad
_v_add_u32 v10, v4, 14                             // coord0 += element index of load vector
_v_add_u32 v9, v6, 0                               // offset coord1 += nColPerLoad
v_cmp_lt_u32 s[54:55], v10, s[sgprSizeI]           // coord0 < size0
v_cmp_lt_u32 s[56:57], v11, s[sgprSizeJ]           // coord1 < size1
s_and_b64 s[56:57], s[54:55], s[56:57]             // in0 && in1
v_mul_lo_u32 v9, v9, s[sgprStrideD1J]              // coord1 element offset =  coord1 * StrideD
_v_add_lshl_u32 v9, v9, v10, 0x0                   // scale to BPE
v_cndmask_b32 v9, -1, v9, s[56:57]                 // clip if OOB. offset
buffer_store_byte_d16_hi v23, v9, s[sgprSrdD:sgprSrdD+3], 0, offen, offset:0 // store D
_v_add_u32 v11, v5, 0                              // coord1 += nColPerLoad
_v_add_u32 v10, v4, 15                             // coord0 += element index of load vector
_v_add_u32 v9, v6, 0                               // offset coord1 += nColPerLoad
v_cmp_lt_u32 s[54:55], v10, s[sgprSizeI]           // coord0 < size0
v_cmp_lt_u32 s[56:57], v11, s[sgprSizeJ]           // coord1 < size1
s_and_b64 s[56:57], s[54:55], s[56:57]             // in0 && in1
v_mul_lo_u32 v9, v9, s[sgprStrideD1J]              // coord1 element offset =  coord1 * StrideD
_v_add_lshl_u32 v9, v9, v10, 0x0                   // scale to BPE
v_cndmask_b32 v9, -1, v9, s[56:57]                 // clip if OOB. offset
v_lshrrev_b32 v17, 8, v23                          // vGWTmp = src >> 8
buffer_store_byte_d16_hi v17, v9, s[sgprSrdD:sgprSrdD+3], 0, offen, offset:0 // store D
s_waitcnt lgkmcnt(0)                               // wait for LDS read
_v_add_u32 v11, v5, 4                              // coord1 += nColPerLoad
_v_add_u32 v10, v4, 0                              // coord0 += element index of load vector
_v_add_u32 v9, v6, 4                               // offset coord1 += nColPerLoad
v_cmp_lt_u32 s[54:55], v10, s[sgprSizeI]           // coord0 < size0
v_cmp_lt_u32 s[56:57], v11, s[sgprSizeJ]           // coord1 < size1
s_and_b64 s[56:57], s[54:55], s[56:57]             // in0 && in1
v_mul_lo_u32 v9, v9, s[sgprStrideD1J]              // coord1 element offset =  coord1 * StrideD
_v_add_lshl_u32 v9, v9, v10, 0x0                   // scale to BPE
v_cndmask_b32 v9, -1, v9, s[56:57]                 // clip if OOB. offset
buffer_store_byte v24, v9, s[sgprSrdD:sgprSrdD+3], 0, offen, offset:0 // store D
_v_add_u32 v11, v5, 4                              // coord1 += nColPerLoad
_v_add_u32 v10, v4, 1                              // coord0 += element index of load vector
_v_add_u32 v9, v6, 4                               // offset coord1 += nColPerLoad
v_cmp_lt_u32 s[54:55], v10, s[sgprSizeI]           // coord0 < size0
v_cmp_lt_u32 s[56:57], v11, s[sgprSizeJ]           // coord1 < size1
s_and_b64 s[56:57], s[54:55], s[56:57]             // in0 && in1
v_mul_lo_u32 v9, v9, s[sgprStrideD1J]              // coord1 element offset =  coord1 * StrideD
_v_add_lshl_u32 v9, v9, v10, 0x0                   // scale to BPE
v_cndmask_b32 v9, -1, v9, s[56:57]                 // clip if OOB. offset
v_lshrrev_b32 v17, 8, v24                          // vGWTmp = src >> 8
buffer_store_byte v17, v9, s[sgprSrdD:sgprSrdD+3], 0, offen, offset:0 // store D
_v_add_u32 v11, v5, 4                              // coord1 += nColPerLoad
_v_add_u32 v10, v4, 2                              // coord0 += element index of load vector
_v_add_u32 v9, v6, 4                               // offset coord1 += nColPerLoad
v_cmp_lt_u32 s[54:55], v10, s[sgprSizeI]           // coord0 < size0
v_cmp_lt_u32 s[56:57], v11, s[sgprSizeJ]           // coord1 < size1
s_and_b64 s[56:57], s[54:55], s[56:57]             // in0 && in1
v_mul_lo_u32 v9, v9, s[sgprStrideD1J]              // coord1 element offset =  coord1 * StrideD
_v_add_lshl_u32 v9, v9, v10, 0x0                   // scale to BPE
v_cndmask_b32 v9, -1, v9, s[56:57]                 // clip if OOB. offset
buffer_store_byte_d16_hi v24, v9, s[sgprSrdD:sgprSrdD+3], 0, offen, offset:0 // store D
_v_add_u32 v11, v5, 4                              // coord1 += nColPerLoad
_v_add_u32 v10, v4, 3                              // coord0 += element index of load vector
_v_add_u32 v9, v6, 4                               // offset coord1 += nColPerLoad
v_cmp_lt_u32 s[54:55], v10, s[sgprSizeI]           // coord0 < size0
v_cmp_lt_u32 s[56:57], v11, s[sgprSizeJ]           // coord1 < size1
s_and_b64 s[56:57], s[54:55], s[56:57]             // in0 && in1
v_mul_lo_u32 v9, v9, s[sgprStrideD1J]              // coord1 element offset =  coord1 * StrideD
_v_add_lshl_u32 v9, v9, v10, 0x0                   // scale to BPE
v_cndmask_b32 v9, -1, v9, s[56:57]                 // clip if OOB. offset
v_lshrrev_b32 v17, 8, v24                          // vGWTmp = src >> 8
buffer_store_byte_d16_hi v17, v9, s[sgprSrdD:sgprSrdD+3], 0, offen, offset:0 // store D
_v_add_u32 v11, v5, 4                              // coord1 += nColPerLoad
_v_add_u32 v10, v4, 4                              // coord0 += element index of load vector
_v_add_u32 v9, v6, 4                               // offset coord1 += nColPerLoad
v_cmp_lt_u32 s[54:55], v10, s[sgprSizeI]           // coord0 < size0
v_cmp_lt_u32 s[56:57], v11, s[sgprSizeJ]           // coord1 < size1
s_and_b64 s[56:57], s[54:55], s[56:57]             // in0 && in1
v_mul_lo_u32 v9, v9, s[sgprStrideD1J]              // coord1 element offset =  coord1 * StrideD
_v_add_lshl_u32 v9, v9, v10, 0x0                   // scale to BPE
v_cndmask_b32 v9, -1, v9, s[56:57]                 // clip if OOB. offset
buffer_store_byte v25, v9, s[sgprSrdD:sgprSrdD+3], 0, offen, offset:0 // store D
_v_add_u32 v11, v5, 4                              // coord1 += nColPerLoad
_v_add_u32 v10, v4, 5                              // coord0 += element index of load vector
_v_add_u32 v9, v6, 4                               // offset coord1 += nColPerLoad
v_cmp_lt_u32 s[54:55], v10, s[sgprSizeI]           // coord0 < size0
v_cmp_lt_u32 s[56:57], v11, s[sgprSizeJ]           // coord1 < size1
s_and_b64 s[56:57], s[54:55], s[56:57]             // in0 && in1
v_mul_lo_u32 v9, v9, s[sgprStrideD1J]              // coord1 element offset =  coord1 * StrideD
_v_add_lshl_u32 v9, v9, v10, 0x0                   // scale to BPE
v_cndmask_b32 v9, -1, v9, s[56:57]                 // clip if OOB. offset
v_lshrrev_b32 v17, 8, v25                          // vGWTmp = src >> 8
buffer_store_byte v17, v9, s[sgprSrdD:sgprSrdD+3], 0, offen, offset:0 // store D
_v_add_u32 v11, v5, 4                              // coord1 += nColPerLoad
_v_add_u32 v10, v4, 6                              // coord0 += element index of load vector
_v_add_u32 v9, v6, 4                               // offset coord1 += nColPerLoad
v_cmp_lt_u32 s[54:55], v10, s[sgprSizeI]           // coord0 < size0
v_cmp_lt_u32 s[56:57], v11, s[sgprSizeJ]           // coord1 < size1
s_and_b64 s[56:57], s[54:55], s[56:57]             // in0 && in1
v_mul_lo_u32 v9, v9, s[sgprStrideD1J]              // coord1 element offset =  coord1 * StrideD
_v_add_lshl_u32 v9, v9, v10, 0x0                   // scale to BPE
v_cndmask_b32 v9, -1, v9, s[56:57]                 // clip if OOB. offset
buffer_store_byte_d16_hi v25, v9, s[sgprSrdD:sgprSrdD+3], 0, offen, offset:0 // store D
_v_add_u32 v11, v5, 4                              // coord1 += nColPerLoad
_v_add_u32 v10, v4, 7                              // coord0 += element index of load vector
_v_add_u32 v9, v6, 4                               // offset coord1 += nColPerLoad
v_cmp_lt_u32 s[54:55], v10, s[sgprSizeI]           // coord0 < size0
v_cmp_lt_u32 s[56:57], v11, s[sgprSizeJ]           // coord1 < size1
s_and_b64 s[56:57], s[54:55], s[56:57]             // in0 && in1
v_mul_lo_u32 v9, v9, s[sgprStrideD1J]              // coord1 element offset =  coord1 * StrideD
_v_add_lshl_u32 v9, v9, v10, 0x0                   // scale to BPE
v_cndmask_b32 v9, -1, v9, s[56:57]                 // clip if OOB. offset
v_lshrrev_b32 v17, 8, v25                          // vGWTmp = src >> 8
buffer_store_byte_d16_hi v17, v9, s[sgprSrdD:sgprSrdD+3], 0, offen, offset:0 // store D
_v_add_u32 v11, v5, 4                              // coord1 += nColPerLoad
_v_add_u32 v10, v4, 8                              // coord0 += element index of load vector
_v_add_u32 v9, v6, 4                               // offset coord1 += nColPerLoad
v_cmp_lt_u32 s[54:55], v10, s[sgprSizeI]           // coord0 < size0
v_cmp_lt_u32 s[56:57], v11, s[sgprSizeJ]           // coord1 < size1
s_and_b64 s[56:57], s[54:55], s[56:57]             // in0 && in1
v_mul_lo_u32 v9, v9, s[sgprStrideD1J]              // coord1 element offset =  coord1 * StrideD
_v_add_lshl_u32 v9, v9, v10, 0x0                   // scale to BPE
v_cndmask_b32 v9, -1, v9, s[56:57]                 // clip if OOB. offset
buffer_store_byte v26, v9, s[sgprSrdD:sgprSrdD+3], 0, offen, offset:0 // store D
_v_add_u32 v11, v5, 4                              // coord1 += nColPerLoad
_v_add_u32 v10, v4, 9                              // coord0 += element index of load vector
_v_add_u32 v9, v6, 4                               // offset coord1 += nColPerLoad
v_cmp_lt_u32 s[54:55], v10, s[sgprSizeI]           // coord0 < size0
v_cmp_lt_u32 s[56:57], v11, s[sgprSizeJ]           // coord1 < size1
s_and_b64 s[56:57], s[54:55], s[56:57]             // in0 && in1
v_mul_lo_u32 v9, v9, s[sgprStrideD1J]              // coord1 element offset =  coord1 * StrideD
_v_add_lshl_u32 v9, v9, v10, 0x0                   // scale to BPE
v_cndmask_b32 v9, -1, v9, s[56:57]                 // clip if OOB. offset
v_lshrrev_b32 v17, 8, v26                          // vGWTmp = src >> 8
buffer_store_byte v17, v9, s[sgprSrdD:sgprSrdD+3], 0, offen, offset:0 // store D
_v_add_u32 v11, v5, 4                              // coord1 += nColPerLoad
_v_add_u32 v10, v4, 10                             // coord0 += element index of load vector
_v_add_u32 v9, v6, 4                               // offset coord1 += nColPerLoad
v_cmp_lt_u32 s[54:55], v10, s[sgprSizeI]           // coord0 < size0
v_cmp_lt_u32 s[56:57], v11, s[sgprSizeJ]           // coord1 < size1
s_and_b64 s[56:57], s[54:55], s[56:57]             // in0 && in1
v_mul_lo_u32 v9, v9, s[sgprStrideD1J]              // coord1 element offset =  coord1 * StrideD
_v_add_lshl_u32 v9, v9, v10, 0x0                   // scale to BPE
v_cndmask_b32 v9, -1, v9, s[56:57]                 // clip if OOB. offset
buffer_store_byte_d16_hi v26, v9, s[sgprSrdD:sgprSrdD+3], 0, offen, offset:0 // store D
_v_add_u32 v11, v5, 4                              // coord1 += nColPerLoad
_v_add_u32 v10, v4, 11                             // coord0 += element index of load vector
_v_add_u32 v9, v6, 4                               // offset coord1 += nColPerLoad
v_cmp_lt_u32 s[54:55], v10, s[sgprSizeI]           // coord0 < size0
v_cmp_lt_u32 s[56:57], v11, s[sgprSizeJ]           // coord1 < size1
s_and_b64 s[56:57], s[54:55], s[56:57]             // in0 && in1
v_mul_lo_u32 v9, v9, s[sgprStrideD1J]              // coord1 element offset =  coord1 * StrideD
_v_add_lshl_u32 v9, v9, v10, 0x0                   // scale to BPE
v_cndmask_b32 v9, -1, v9, s[56:57]                 // clip if OOB. offset
v_lshrrev_b32 v17, 8, v26                          // vGWTmp = src >> 8
buffer_store_byte_d16_hi v17, v9, s[sgprSrdD:sgprSrdD+3], 0, offen, offset:0 // store D
_v_add_u32 v11, v5, 4                              // coord1 += nColPerLoad
_v_add_u32 v10, v4, 12                             // coord0 += element index of load vector
_v_add_u32 v9, v6, 4                               // offset coord1 += nColPerLoad
v_cmp_lt_u32 s[54:55], v10, s[sgprSizeI]           // coord0 < size0
v_cmp_lt_u32 s[56:57], v11, s[sgprSizeJ]           // coord1 < size1
s_and_b64 s[56:57], s[54:55], s[56:57]             // in0 && in1
v_mul_lo_u32 v9, v9, s[sgprStrideD1J]              // coord1 element offset =  coord1 * StrideD
_v_add_lshl_u32 v9, v9, v10, 0x0                   // scale to BPE
v_cndmask_b32 v9, -1, v9, s[56:57]                 // clip if OOB. offset
buffer_store_byte v27, v9, s[sgprSrdD:sgprSrdD+3], 0, offen, offset:0 // store D
_v_add_u32 v11, v5, 4                              // coord1 += nColPerLoad
_v_add_u32 v10, v4, 13                             // coord0 += element index of load vector
_v_add_u32 v9, v6, 4                               // offset coord1 += nColPerLoad
v_cmp_lt_u32 s[54:55], v10, s[sgprSizeI]           // coord0 < size0
v_cmp_lt_u32 s[56:57], v11, s[sgprSizeJ]           // coord1 < size1
s_and_b64 s[56:57], s[54:55], s[56:57]             // in0 && in1
v_mul_lo_u32 v9, v9, s[sgprStrideD1J]              // coord1 element offset =  coord1 * StrideD
_v_add_lshl_u32 v9, v9, v10, 0x0                   // scale to BPE
v_cndmask_b32 v9, -1, v9, s[56:57]                 // clip if OOB. offset
v_lshrrev_b32 v17, 8, v27                          // vGWTmp = src >> 8
buffer_store_byte v17, v9, s[sgprSrdD:sgprSrdD+3], 0, offen, offset:0 // store D
_v_add_u32 v11, v5, 4                              // coord1 += nColPerLoad
_v_add_u32 v10, v4, 14                             // coord0 += element index of load vector
_v_add_u32 v9, v6, 4                               // offset coord1 += nColPerLoad
v_cmp_lt_u32 s[54:55], v10, s[sgprSizeI]           // coord0 < size0
v_cmp_lt_u32 s[56:57], v11, s[sgprSizeJ]           // coord1 < size1
s_and_b64 s[56:57], s[54:55], s[56:57]             // in0 && in1
v_mul_lo_u32 v9, v9, s[sgprStrideD1J]              // coord1 element offset =  coord1 * StrideD
_v_add_lshl_u32 v9, v9, v10, 0x0                   // scale to BPE
v_cndmask_b32 v9, -1, v9, s[56:57]                 // clip if OOB. offset
buffer_store_byte_d16_hi v27, v9, s[sgprSrdD:sgprSrdD+3], 0, offen, offset:0 // store D
_v_add_u32 v11, v5, 4                              // coord1 += nColPerLoad
_v_add_u32 v10, v4, 15                             // coord0 += element index of load vector
_v_add_u32 v9, v6, 4                               // offset coord1 += nColPerLoad
v_cmp_lt_u32 s[54:55], v10, s[sgprSizeI]           // coord0 < size0
v_cmp_lt_u32 s[56:57], v11, s[sgprSizeJ]           // coord1 < size1
s_and_b64 s[56:57], s[54:55], s[56:57]             // in0 && in1
v_mul_lo_u32 v9, v9, s[sgprStrideD1J]              // coord1 element offset =  coord1 * StrideD
_v_add_lshl_u32 v9, v9, v10, 0x0                   // scale to BPE
v_cndmask_b32 v9, -1, v9, s[56:57]                 // clip if OOB. offset
v_lshrrev_b32 v17, 8, v27                          // vGWTmp = src >> 8
buffer_store_byte_d16_hi v17, v9, s[sgprSrdD:sgprSrdD+3], 0, offen, offset:0 // store D

s_barrier //wait all lds read finished
s_nop 0                                            // 1 wait state required when next inst writes vgprs held by previous dwordx4 store inst
/* optSingleColVgpr=0 optSharedColVgpr=0 optSGPRUsage=BufferLoad_Edge_Mask optSrdIncForRow=1 */

/******************************************/
/* Global Write Alpha Edge Batch #6 (d1,d0,vc1,vc0) = */
/*    (6,0,0,0:vw4); (6,1,0,0:vw4); (6,2,0,0:vw4); (6,3,0,0:vw4); (6,4,0,0:vw4); (6,5,0,0:vw4); (6,6,0,0:vw4); (6,7,0,0:vw4) */
/******************************************/

/* calc coords, apply mask, and issue loads (if necessary) */
/* (d1,vc1,d0,vc0)=(6,0,0,0) */
_v_add_co_u32 v1, vcc, v1, 32                      // coord1.1: coord1Vgpr += d1*sg1*VW + vc1
_v_add_lshl_u32 v9, v3, v0, 0x0                    // scaleToBpe: accumulate d0 lower and *= bpe into Cin addr
/* (d1,vc1,d0,vc0)=(6,0,1,0) */
_v_add_co_u32 v10, vcc, v0, 8                      // coord0.1: coord0 += d0*sg0*VW + vc0
_v_add_lshl_u32 v17, v3, v10, 0x0                  // scaleToBpe: accumulate d0 lower and *= bpe into Cin addr
/* (d1,vc1,d0,vc0)=(6,0,2,0) */
_v_add_co_u32 v10, vcc, v0, 16                     // coord0.1: coord0 += d0*sg0*VW + vc0
_v_add_lshl_u32 v18, v3, v10, 0x0                  // scaleToBpe: accumulate d0 lower and *= bpe into Cin addr
/* (d1,vc1,d0,vc0)=(6,0,3,0) */
_v_add_co_u32 v10, vcc, v0, 24                     // coord0.1: coord0 += d0*sg0*VW + vc0
_v_add_lshl_u32 v19, v3, v10, 0x0                  // scaleToBpe: accumulate d0 lower and *= bpe into Cin addr
/* (d1,vc1,d0,vc0)=(6,0,4,0) */
s_mov_b32 s54, 128                                 // coordOffset0 d0=4 vc0=0
_v_add_co_u32 v10, vcc, v0, s54                    // coord0.2: coord0 += d0*sg0*VW + vc0
_v_add_lshl_u32 v36, v3, v10, 0x0                  // scaleToBpe: accumulate d0 lower and *= bpe into Cin addr
/* (d1,vc1,d0,vc0)=(6,0,5,0) */
s_mov_b32 s54, 136                                 // coordOffset0 d0=5 vc0=0
_v_add_co_u32 v10, vcc, v0, s54                    // coord0.2: coord0 += d0*sg0*VW + vc0
	;; [unrolled: 4-line block ×4, first 2 shown]
_v_add_lshl_u32 v39, v3, v10, 0x0                  // scaleToBpe: accumulate d0 lower and *= bpe into Cin addr
v_accvgpr_read_b32 v[vgprValuC+20], acc192 // copy acc to vreg[192]
v_accvgpr_read_b32 v[vgprValuC+21], acc193 // copy acc to vreg[193]
v_accvgpr_read_b32 v[vgprValuC+22], acc194 // copy acc to vreg[194]
v_accvgpr_read_b32 v[vgprValuC+23], acc195 // copy acc to vreg[195]
v_accvgpr_read_b32 v[vgprValuC+24], acc196 // copy acc to vreg[196]
v_accvgpr_read_b32 v[vgprValuC+25], acc197 // copy acc to vreg[197]
v_accvgpr_read_b32 v[vgprValuC+26], acc198 // copy acc to vreg[198]
v_accvgpr_read_b32 v[vgprValuC+27], acc199 // copy acc to vreg[199]
v_accvgpr_read_b32 v[vgprValuC+28], acc200 // copy acc to vreg[200]
v_accvgpr_read_b32 v[vgprValuC+29], acc201 // copy acc to vreg[201]
v_accvgpr_read_b32 v[vgprValuC+30], acc202 // copy acc to vreg[202]
v_accvgpr_read_b32 v[vgprValuC+31], acc203 // copy acc to vreg[203]
v_accvgpr_read_b32 v[vgprValuC+32], acc204 // copy acc to vreg[204]
v_accvgpr_read_b32 v[vgprValuC+33], acc205 // copy acc to vreg[205]
v_accvgpr_read_b32 v[vgprValuC+34], acc206 // copy acc to vreg[206]
v_accvgpr_read_b32 v[vgprValuC+35], acc207 // copy acc to vreg[207]
v_accvgpr_read_b32 v[vgprValuC+40], acc208 // copy acc to vreg[208]
v_accvgpr_read_b32 v[vgprValuC+41], acc209 // copy acc to vreg[209]
v_accvgpr_read_b32 v[vgprValuC+42], acc210 // copy acc to vreg[210]
v_accvgpr_read_b32 v[vgprValuC+43], acc211 // copy acc to vreg[211]
v_accvgpr_read_b32 v[vgprValuC+44], acc212 // copy acc to vreg[212]
v_accvgpr_read_b32 v[vgprValuC+45], acc213 // copy acc to vreg[213]
v_accvgpr_read_b32 v[vgprValuC+46], acc214 // copy acc to vreg[214]
v_accvgpr_read_b32 v[vgprValuC+47], acc215 // copy acc to vreg[215]
v_accvgpr_read_b32 v[vgprValuC+48], acc216 // copy acc to vreg[216]
v_accvgpr_read_b32 v[vgprValuC+49], acc217 // copy acc to vreg[217]
v_accvgpr_read_b32 v[vgprValuC+50], acc218 // copy acc to vreg[218]
v_accvgpr_read_b32 v[vgprValuC+51], acc219 // copy acc to vreg[219]
v_accvgpr_read_b32 v[vgprValuC+52], acc220 // copy acc to vreg[220]
v_accvgpr_read_b32 v[vgprValuC+53], acc221 // copy acc to vreg[221]
v_accvgpr_read_b32 v[vgprValuC+54], acc222 // copy acc to vreg[222]
v_accvgpr_read_b32 v[vgprValuC+55], acc223 // copy acc to vreg[223]
s_nop 1                                            // 2 wait states required before reading vgpr

/* rC *= alpha batchElements=[(6, 0, 0, 0), (6, 1, 0, 0), (6, 2, 0, 0), (6, 3, 0, 0), (6, 4, 0, 0), (6, 5, 0, 0), (6, 6, 0, 0), (6, 7, 0, 0)] */
v_mul_f32 v[vgprValuC+20], s[sgprAlpha], v[vgprValuC+20] // *= alpha
v_mul_f32 v[vgprValuC+21], s[sgprAlpha], v[vgprValuC+21] // *= alpha
	;; [unrolled: 1-line block ×32, first 2 shown]

/* apply mask, calc new C and issue writes */
v_mov_b32 v16, 0x207                               // flag for Nan and +/- inf
v_mov_b32 v14, 0x43700000                          // save 240.0f as max for clipping
v_mov_b32 v15, 0xC3700000                          // save -240.0f as min for clipping

/* StoreRemap: shift coord1 address */
s_mul_i32 s54, s[sgprStrideD1J], 32                // scale StrideD *= numRows(32) * bpe
s_add_u32  s[sgprSrdD+0], s[sgprSrdD+0], s54       // incToNextRow: gra SRD += inc(lower)
s_addc_u32  s[sgprSrdD+1], s[sgprSrdD+1], 0        // incToNextRow: gra SRD += inc(upper)
v_mov_b32 v10, 32                                  // set shift rows
_v_add_u32 v5, v5, v10                             // shift storeRemap coord1
v_cmp_class_f32 s[54:55], v[vgprValuC+20], v16     // check NaN and +/-INF
v_med3_f32 v12, v[vgprValuC+20], v14, v15          // Clipping f32 value if exceeds the limit
v_cndmask_b32 v12, v12, v[vgprValuC+20], s[54:55]  // 
v_cmp_class_f32 s[54:55], v[vgprValuC+21], v16     // check NaN and +/-INF
v_med3_f32 v13, v[vgprValuC+21], v14, v15          // Clipping f32 value if exceeds the limit
v_cndmask_b32 v13, v13, v[vgprValuC+21], s[54:55]  // 
v_cvt_pk_fp8_f32  v20, v12, v13 op_sel:[0,0,0]     // convert two f32 accumulated values to fp8 and save it to lo_16[0:15]
v_cmp_class_f32 s[54:55], v[vgprValuC+22], v16     // check NaN and +/-INF
v_med3_f32 v12, v[vgprValuC+22], v14, v15          // Clipping f32 value if exceeds the limit
v_cndmask_b32 v12, v12, v[vgprValuC+22], s[54:55]  // 
v_cmp_class_f32 s[54:55], v[vgprValuC+23], v16     // check NaN and +/-INF
v_med3_f32 v13, v[vgprValuC+23], v14, v15          // Clipping f32 value if exceeds the limit
v_cndmask_b32 v13, v13, v[vgprValuC+23], s[54:55]  // 
v_cvt_pk_fp8_f32  v20, v12, v13 op_sel:[0,0,1]     // convert two f32 accumulated values to fp8 and save it to hi_16[16:31]
_ds_store_b32 v7, v20, offset:0                    // storeRemap lw
v_cmp_class_f32 s[54:55], v[vgprValuC+24], v16     // check NaN and +/-INF
v_med3_f32 v12, v[vgprValuC+24], v14, v15          // Clipping f32 value if exceeds the limit
v_cndmask_b32 v12, v12, v[vgprValuC+24], s[54:55]  // 
v_cmp_class_f32 s[54:55], v[vgprValuC+25], v16     // check NaN and +/-INF
v_med3_f32 v13, v[vgprValuC+25], v14, v15          // Clipping f32 value if exceeds the limit
v_cndmask_b32 v13, v13, v[vgprValuC+25], s[54:55]  // 
v_cvt_pk_fp8_f32  v24, v12, v13 op_sel:[0,0,0]     // convert two f32 accumulated values to fp8 and save it to lo_16[0:15]
v_cmp_class_f32 s[54:55], v[vgprValuC+26], v16     // check NaN and +/-INF
v_med3_f32 v12, v[vgprValuC+26], v14, v15          // Clipping f32 value if exceeds the limit
v_cndmask_b32 v12, v12, v[vgprValuC+26], s[54:55]  // 
v_cmp_class_f32 s[54:55], v[vgprValuC+27], v16     // check NaN and +/-INF
v_med3_f32 v13, v[vgprValuC+27], v14, v15          // Clipping f32 value if exceeds the limit
v_cndmask_b32 v13, v13, v[vgprValuC+27], s[54:55]  // 
v_cvt_pk_fp8_f32  v24, v12, v13 op_sel:[0,0,1]     // convert two f32 accumulated values to fp8 and save it to hi_16[16:31]
_ds_store_b32 v7, v24, offset:8                    // storeRemap lw
v_cmp_class_f32 s[54:55], v[vgprValuC+28], v16     // check NaN and +/-INF
v_med3_f32 v12, v[vgprValuC+28], v14, v15          // Clipping f32 value if exceeds the limit
v_cndmask_b32 v12, v12, v[vgprValuC+28], s[54:55]  // 
v_cmp_class_f32 s[54:55], v[vgprValuC+29], v16     // check NaN and +/-INF
v_med3_f32 v13, v[vgprValuC+29], v14, v15          // Clipping f32 value if exceeds the limit
v_cndmask_b32 v13, v13, v[vgprValuC+29], s[54:55]  // 
v_cvt_pk_fp8_f32  v28, v12, v13 op_sel:[0,0,0]     // convert two f32 accumulated values to fp8 and save it to lo_16[0:15]
v_cmp_class_f32 s[54:55], v[vgprValuC+30], v16     // check NaN and +/-INF
v_med3_f32 v12, v[vgprValuC+30], v14, v15          // Clipping f32 value if exceeds the limit
v_cndmask_b32 v12, v12, v[vgprValuC+30], s[54:55]  // 
v_cmp_class_f32 s[54:55], v[vgprValuC+31], v16     // check NaN and +/-INF
v_med3_f32 v13, v[vgprValuC+31], v14, v15          // Clipping f32 value if exceeds the limit
v_cndmask_b32 v13, v13, v[vgprValuC+31], s[54:55]  // 
v_cvt_pk_fp8_f32  v28, v12, v13 op_sel:[0,0,1]     // convert two f32 accumulated values to fp8 and save it to hi_16[16:31]
_ds_store_b32 v7, v28, offset:16                   // storeRemap lw
v_cmp_class_f32 s[54:55], v[vgprValuC+32], v16     // check NaN and +/-INF
v_med3_f32 v12, v[vgprValuC+32], v14, v15          // Clipping f32 value if exceeds the limit
v_cndmask_b32 v12, v12, v[vgprValuC+32], s[54:55]  // 
v_cmp_class_f32 s[54:55], v[vgprValuC+33], v16     // check NaN and +/-INF
v_med3_f32 v13, v[vgprValuC+33], v14, v15          // Clipping f32 value if exceeds the limit
v_cndmask_b32 v13, v13, v[vgprValuC+33], s[54:55]  // 
v_cvt_pk_fp8_f32  v32, v12, v13 op_sel:[0,0,0]     // convert two f32 accumulated values to fp8 and save it to lo_16[0:15]
v_cmp_class_f32 s[54:55], v[vgprValuC+34], v16     // check NaN and +/-INF
v_med3_f32 v12, v[vgprValuC+34], v14, v15          // Clipping f32 value if exceeds the limit
v_cndmask_b32 v12, v12, v[vgprValuC+34], s[54:55]  // 
v_cmp_class_f32 s[54:55], v[vgprValuC+35], v16     // check NaN and +/-INF
v_med3_f32 v13, v[vgprValuC+35], v14, v15          // Clipping f32 value if exceeds the limit
v_cndmask_b32 v13, v13, v[vgprValuC+35], s[54:55]  // 
v_cvt_pk_fp8_f32  v32, v12, v13 op_sel:[0,0,1]     // convert two f32 accumulated values to fp8 and save it to hi_16[16:31]
_ds_store_b32 v7, v32, offset:24                   // storeRemap lw
v_cmp_class_f32 s[54:55], v[vgprValuC+40], v16     // check NaN and +/-INF
v_med3_f32 v12, v[vgprValuC+40], v14, v15          // Clipping f32 value if exceeds the limit
v_cndmask_b32 v12, v12, v[vgprValuC+40], s[54:55]  // 
v_cmp_class_f32 s[54:55], v[vgprValuC+41], v16     // check NaN and +/-INF
v_med3_f32 v13, v[vgprValuC+41], v14, v15          // Clipping f32 value if exceeds the limit
v_cndmask_b32 v13, v13, v[vgprValuC+41], s[54:55]  // 
v_cvt_pk_fp8_f32  v40, v12, v13 op_sel:[0,0,0]     // convert two f32 accumulated values to fp8 and save it to lo_16[0:15]
v_cmp_class_f32 s[54:55], v[vgprValuC+42], v16     // check NaN and +/-INF
v_med3_f32 v12, v[vgprValuC+42], v14, v15          // Clipping f32 value if exceeds the limit
v_cndmask_b32 v12, v12, v[vgprValuC+42], s[54:55]  // 
v_cmp_class_f32 s[54:55], v[vgprValuC+43], v16     // check NaN and +/-INF
v_med3_f32 v13, v[vgprValuC+43], v14, v15          // Clipping f32 value if exceeds the limit
v_cndmask_b32 v13, v13, v[vgprValuC+43], s[54:55]  // 
v_cvt_pk_fp8_f32  v40, v12, v13 op_sel:[0,0,1]     // convert two f32 accumulated values to fp8 and save it to hi_16[16:31]
_ds_store_b32 v7, v40, offset:128                  // storeRemap lw
v_cmp_class_f32 s[54:55], v[vgprValuC+44], v16     // check NaN and +/-INF
v_med3_f32 v12, v[vgprValuC+44], v14, v15          // Clipping f32 value if exceeds the limit
v_cndmask_b32 v12, v12, v[vgprValuC+44], s[54:55]  // 
v_cmp_class_f32 s[54:55], v[vgprValuC+45], v16     // check NaN and +/-INF
v_med3_f32 v13, v[vgprValuC+45], v14, v15          // Clipping f32 value if exceeds the limit
v_cndmask_b32 v13, v13, v[vgprValuC+45], s[54:55]  // 
v_cvt_pk_fp8_f32  v44, v12, v13 op_sel:[0,0,0]     // convert two f32 accumulated values to fp8 and save it to lo_16[0:15]
v_cmp_class_f32 s[54:55], v[vgprValuC+46], v16     // check NaN and +/-INF
v_med3_f32 v12, v[vgprValuC+46], v14, v15          // Clipping f32 value if exceeds the limit
v_cndmask_b32 v12, v12, v[vgprValuC+46], s[54:55]  // 
v_cmp_class_f32 s[54:55], v[vgprValuC+47], v16     // check NaN and +/-INF
v_med3_f32 v13, v[vgprValuC+47], v14, v15          // Clipping f32 value if exceeds the limit
v_cndmask_b32 v13, v13, v[vgprValuC+47], s[54:55]  // 
v_cvt_pk_fp8_f32  v44, v12, v13 op_sel:[0,0,1]     // convert two f32 accumulated values to fp8 and save it to hi_16[16:31]
_ds_store_b32 v7, v44, offset:136                  // storeRemap lw
	;; [unrolled: 15-line block ×4, first 2 shown]

/* Handle local read and global write */
s_waitcnt lgkmcnt(0)                               // wait for LDS write
s_barrier //wait all lds write finished

_ds_load_b128 v[20:23], v8, offset:0               // storeRemap lr
_ds_load_b128 v[24:27], v8, offset:1088            // storeRemap lr

s_waitcnt lgkmcnt(1)                               // wait for LDS read
_v_add_u32 v11, v5, 0                              // coord1 += nColPerLoad
_v_add_u32 v10, v4, 0                              // coord0 += element index of load vector
_v_add_u32 v9, v6, 0                               // offset coord1 += nColPerLoad
v_cmp_lt_u32 s[54:55], v10, s[sgprSizeI]           // coord0 < size0
v_cmp_lt_u32 s[56:57], v11, s[sgprSizeJ]           // coord1 < size1
s_and_b64 s[56:57], s[54:55], s[56:57]             // in0 && in1
v_mul_lo_u32 v9, v9, s[sgprStrideD1J]              // coord1 element offset =  coord1 * StrideD
_v_add_lshl_u32 v9, v9, v10, 0x0                   // scale to BPE
v_cndmask_b32 v9, -1, v9, s[56:57]                 // clip if OOB. offset
buffer_store_byte v20, v9, s[sgprSrdD:sgprSrdD+3], 0, offen, offset:0 // store D
_v_add_u32 v11, v5, 0                              // coord1 += nColPerLoad
_v_add_u32 v10, v4, 1                              // coord0 += element index of load vector
_v_add_u32 v9, v6, 0                               // offset coord1 += nColPerLoad
v_cmp_lt_u32 s[54:55], v10, s[sgprSizeI]           // coord0 < size0
v_cmp_lt_u32 s[56:57], v11, s[sgprSizeJ]           // coord1 < size1
s_and_b64 s[56:57], s[54:55], s[56:57]             // in0 && in1
v_mul_lo_u32 v9, v9, s[sgprStrideD1J]              // coord1 element offset =  coord1 * StrideD
_v_add_lshl_u32 v9, v9, v10, 0x0                   // scale to BPE
v_cndmask_b32 v9, -1, v9, s[56:57]                 // clip if OOB. offset
v_lshrrev_b32 v17, 8, v20                          // vGWTmp = src >> 8
buffer_store_byte v17, v9, s[sgprSrdD:sgprSrdD+3], 0, offen, offset:0 // store D
_v_add_u32 v11, v5, 0                              // coord1 += nColPerLoad
_v_add_u32 v10, v4, 2                              // coord0 += element index of load vector
_v_add_u32 v9, v6, 0                               // offset coord1 += nColPerLoad
v_cmp_lt_u32 s[54:55], v10, s[sgprSizeI]           // coord0 < size0
v_cmp_lt_u32 s[56:57], v11, s[sgprSizeJ]           // coord1 < size1
s_and_b64 s[56:57], s[54:55], s[56:57]             // in0 && in1
v_mul_lo_u32 v9, v9, s[sgprStrideD1J]              // coord1 element offset =  coord1 * StrideD
_v_add_lshl_u32 v9, v9, v10, 0x0                   // scale to BPE
v_cndmask_b32 v9, -1, v9, s[56:57]                 // clip if OOB. offset
buffer_store_byte_d16_hi v20, v9, s[sgprSrdD:sgprSrdD+3], 0, offen, offset:0 // store D
_v_add_u32 v11, v5, 0                              // coord1 += nColPerLoad
_v_add_u32 v10, v4, 3                              // coord0 += element index of load vector
_v_add_u32 v9, v6, 0                               // offset coord1 += nColPerLoad
v_cmp_lt_u32 s[54:55], v10, s[sgprSizeI]           // coord0 < size0
v_cmp_lt_u32 s[56:57], v11, s[sgprSizeJ]           // coord1 < size1
s_and_b64 s[56:57], s[54:55], s[56:57]             // in0 && in1
v_mul_lo_u32 v9, v9, s[sgprStrideD1J]              // coord1 element offset =  coord1 * StrideD
_v_add_lshl_u32 v9, v9, v10, 0x0                   // scale to BPE
v_cndmask_b32 v9, -1, v9, s[56:57]                 // clip if OOB. offset
v_lshrrev_b32 v17, 8, v20                          // vGWTmp = src >> 8
buffer_store_byte_d16_hi v17, v9, s[sgprSrdD:sgprSrdD+3], 0, offen, offset:0 // store D
_v_add_u32 v11, v5, 0                              // coord1 += nColPerLoad
_v_add_u32 v10, v4, 4                              // coord0 += element index of load vector
_v_add_u32 v9, v6, 0                               // offset coord1 += nColPerLoad
v_cmp_lt_u32 s[54:55], v10, s[sgprSizeI]           // coord0 < size0
v_cmp_lt_u32 s[56:57], v11, s[sgprSizeJ]           // coord1 < size1
s_and_b64 s[56:57], s[54:55], s[56:57]             // in0 && in1
v_mul_lo_u32 v9, v9, s[sgprStrideD1J]              // coord1 element offset =  coord1 * StrideD
_v_add_lshl_u32 v9, v9, v10, 0x0                   // scale to BPE
v_cndmask_b32 v9, -1, v9, s[56:57]                 // clip if OOB. offset
buffer_store_byte v21, v9, s[sgprSrdD:sgprSrdD+3], 0, offen, offset:0 // store D
_v_add_u32 v11, v5, 0                              // coord1 += nColPerLoad
_v_add_u32 v10, v4, 5                              // coord0 += element index of load vector
_v_add_u32 v9, v6, 0                               // offset coord1 += nColPerLoad
v_cmp_lt_u32 s[54:55], v10, s[sgprSizeI]           // coord0 < size0
v_cmp_lt_u32 s[56:57], v11, s[sgprSizeJ]           // coord1 < size1
s_and_b64 s[56:57], s[54:55], s[56:57]             // in0 && in1
v_mul_lo_u32 v9, v9, s[sgprStrideD1J]              // coord1 element offset =  coord1 * StrideD
_v_add_lshl_u32 v9, v9, v10, 0x0                   // scale to BPE
v_cndmask_b32 v9, -1, v9, s[56:57]                 // clip if OOB. offset
v_lshrrev_b32 v17, 8, v21                          // vGWTmp = src >> 8
buffer_store_byte v17, v9, s[sgprSrdD:sgprSrdD+3], 0, offen, offset:0 // store D
_v_add_u32 v11, v5, 0                              // coord1 += nColPerLoad
_v_add_u32 v10, v4, 6                              // coord0 += element index of load vector
_v_add_u32 v9, v6, 0                               // offset coord1 += nColPerLoad
v_cmp_lt_u32 s[54:55], v10, s[sgprSizeI]           // coord0 < size0
v_cmp_lt_u32 s[56:57], v11, s[sgprSizeJ]           // coord1 < size1
s_and_b64 s[56:57], s[54:55], s[56:57]             // in0 && in1
v_mul_lo_u32 v9, v9, s[sgprStrideD1J]              // coord1 element offset =  coord1 * StrideD
_v_add_lshl_u32 v9, v9, v10, 0x0                   // scale to BPE
v_cndmask_b32 v9, -1, v9, s[56:57]                 // clip if OOB. offset
buffer_store_byte_d16_hi v21, v9, s[sgprSrdD:sgprSrdD+3], 0, offen, offset:0 // store D
_v_add_u32 v11, v5, 0                              // coord1 += nColPerLoad
_v_add_u32 v10, v4, 7                              // coord0 += element index of load vector
_v_add_u32 v9, v6, 0                               // offset coord1 += nColPerLoad
v_cmp_lt_u32 s[54:55], v10, s[sgprSizeI]           // coord0 < size0
v_cmp_lt_u32 s[56:57], v11, s[sgprSizeJ]           // coord1 < size1
s_and_b64 s[56:57], s[54:55], s[56:57]             // in0 && in1
v_mul_lo_u32 v9, v9, s[sgprStrideD1J]              // coord1 element offset =  coord1 * StrideD
_v_add_lshl_u32 v9, v9, v10, 0x0                   // scale to BPE
v_cndmask_b32 v9, -1, v9, s[56:57]                 // clip if OOB. offset
v_lshrrev_b32 v17, 8, v21                          // vGWTmp = src >> 8
buffer_store_byte_d16_hi v17, v9, s[sgprSrdD:sgprSrdD+3], 0, offen, offset:0 // store D
_v_add_u32 v11, v5, 0                              // coord1 += nColPerLoad
_v_add_u32 v10, v4, 8                              // coord0 += element index of load vector
_v_add_u32 v9, v6, 0                               // offset coord1 += nColPerLoad
v_cmp_lt_u32 s[54:55], v10, s[sgprSizeI]           // coord0 < size0
v_cmp_lt_u32 s[56:57], v11, s[sgprSizeJ]           // coord1 < size1
s_and_b64 s[56:57], s[54:55], s[56:57]             // in0 && in1
v_mul_lo_u32 v9, v9, s[sgprStrideD1J]              // coord1 element offset =  coord1 * StrideD
_v_add_lshl_u32 v9, v9, v10, 0x0                   // scale to BPE
v_cndmask_b32 v9, -1, v9, s[56:57]                 // clip if OOB. offset
buffer_store_byte v22, v9, s[sgprSrdD:sgprSrdD+3], 0, offen, offset:0 // store D
_v_add_u32 v11, v5, 0                              // coord1 += nColPerLoad
_v_add_u32 v10, v4, 9                              // coord0 += element index of load vector
_v_add_u32 v9, v6, 0                               // offset coord1 += nColPerLoad
v_cmp_lt_u32 s[54:55], v10, s[sgprSizeI]           // coord0 < size0
v_cmp_lt_u32 s[56:57], v11, s[sgprSizeJ]           // coord1 < size1
s_and_b64 s[56:57], s[54:55], s[56:57]             // in0 && in1
v_mul_lo_u32 v9, v9, s[sgprStrideD1J]              // coord1 element offset =  coord1 * StrideD
_v_add_lshl_u32 v9, v9, v10, 0x0                   // scale to BPE
v_cndmask_b32 v9, -1, v9, s[56:57]                 // clip if OOB. offset
v_lshrrev_b32 v17, 8, v22                          // vGWTmp = src >> 8
buffer_store_byte v17, v9, s[sgprSrdD:sgprSrdD+3], 0, offen, offset:0 // store D
_v_add_u32 v11, v5, 0                              // coord1 += nColPerLoad
_v_add_u32 v10, v4, 10                             // coord0 += element index of load vector
_v_add_u32 v9, v6, 0                               // offset coord1 += nColPerLoad
v_cmp_lt_u32 s[54:55], v10, s[sgprSizeI]           // coord0 < size0
v_cmp_lt_u32 s[56:57], v11, s[sgprSizeJ]           // coord1 < size1
s_and_b64 s[56:57], s[54:55], s[56:57]             // in0 && in1
v_mul_lo_u32 v9, v9, s[sgprStrideD1J]              // coord1 element offset =  coord1 * StrideD
_v_add_lshl_u32 v9, v9, v10, 0x0                   // scale to BPE
v_cndmask_b32 v9, -1, v9, s[56:57]                 // clip if OOB. offset
buffer_store_byte_d16_hi v22, v9, s[sgprSrdD:sgprSrdD+3], 0, offen, offset:0 // store D
_v_add_u32 v11, v5, 0                              // coord1 += nColPerLoad
_v_add_u32 v10, v4, 11                             // coord0 += element index of load vector
_v_add_u32 v9, v6, 0                               // offset coord1 += nColPerLoad
v_cmp_lt_u32 s[54:55], v10, s[sgprSizeI]           // coord0 < size0
v_cmp_lt_u32 s[56:57], v11, s[sgprSizeJ]           // coord1 < size1
s_and_b64 s[56:57], s[54:55], s[56:57]             // in0 && in1
v_mul_lo_u32 v9, v9, s[sgprStrideD1J]              // coord1 element offset =  coord1 * StrideD
_v_add_lshl_u32 v9, v9, v10, 0x0                   // scale to BPE
v_cndmask_b32 v9, -1, v9, s[56:57]                 // clip if OOB. offset
v_lshrrev_b32 v17, 8, v22                          // vGWTmp = src >> 8
buffer_store_byte_d16_hi v17, v9, s[sgprSrdD:sgprSrdD+3], 0, offen, offset:0 // store D
_v_add_u32 v11, v5, 0                              // coord1 += nColPerLoad
_v_add_u32 v10, v4, 12                             // coord0 += element index of load vector
_v_add_u32 v9, v6, 0                               // offset coord1 += nColPerLoad
v_cmp_lt_u32 s[54:55], v10, s[sgprSizeI]           // coord0 < size0
v_cmp_lt_u32 s[56:57], v11, s[sgprSizeJ]           // coord1 < size1
s_and_b64 s[56:57], s[54:55], s[56:57]             // in0 && in1
v_mul_lo_u32 v9, v9, s[sgprStrideD1J]              // coord1 element offset =  coord1 * StrideD
_v_add_lshl_u32 v9, v9, v10, 0x0                   // scale to BPE
v_cndmask_b32 v9, -1, v9, s[56:57]                 // clip if OOB. offset
buffer_store_byte v23, v9, s[sgprSrdD:sgprSrdD+3], 0, offen, offset:0 // store D
_v_add_u32 v11, v5, 0                              // coord1 += nColPerLoad
_v_add_u32 v10, v4, 13                             // coord0 += element index of load vector
_v_add_u32 v9, v6, 0                               // offset coord1 += nColPerLoad
v_cmp_lt_u32 s[54:55], v10, s[sgprSizeI]           // coord0 < size0
v_cmp_lt_u32 s[56:57], v11, s[sgprSizeJ]           // coord1 < size1
s_and_b64 s[56:57], s[54:55], s[56:57]             // in0 && in1
v_mul_lo_u32 v9, v9, s[sgprStrideD1J]              // coord1 element offset =  coord1 * StrideD
_v_add_lshl_u32 v9, v9, v10, 0x0                   // scale to BPE
v_cndmask_b32 v9, -1, v9, s[56:57]                 // clip if OOB. offset
v_lshrrev_b32 v17, 8, v23                          // vGWTmp = src >> 8
buffer_store_byte v17, v9, s[sgprSrdD:sgprSrdD+3], 0, offen, offset:0 // store D
_v_add_u32 v11, v5, 0                              // coord1 += nColPerLoad
_v_add_u32 v10, v4, 14                             // coord0 += element index of load vector
_v_add_u32 v9, v6, 0                               // offset coord1 += nColPerLoad
v_cmp_lt_u32 s[54:55], v10, s[sgprSizeI]           // coord0 < size0
v_cmp_lt_u32 s[56:57], v11, s[sgprSizeJ]           // coord1 < size1
s_and_b64 s[56:57], s[54:55], s[56:57]             // in0 && in1
v_mul_lo_u32 v9, v9, s[sgprStrideD1J]              // coord1 element offset =  coord1 * StrideD
_v_add_lshl_u32 v9, v9, v10, 0x0                   // scale to BPE
v_cndmask_b32 v9, -1, v9, s[56:57]                 // clip if OOB. offset
buffer_store_byte_d16_hi v23, v9, s[sgprSrdD:sgprSrdD+3], 0, offen, offset:0 // store D
_v_add_u32 v11, v5, 0                              // coord1 += nColPerLoad
_v_add_u32 v10, v4, 15                             // coord0 += element index of load vector
_v_add_u32 v9, v6, 0                               // offset coord1 += nColPerLoad
v_cmp_lt_u32 s[54:55], v10, s[sgprSizeI]           // coord0 < size0
v_cmp_lt_u32 s[56:57], v11, s[sgprSizeJ]           // coord1 < size1
s_and_b64 s[56:57], s[54:55], s[56:57]             // in0 && in1
v_mul_lo_u32 v9, v9, s[sgprStrideD1J]              // coord1 element offset =  coord1 * StrideD
_v_add_lshl_u32 v9, v9, v10, 0x0                   // scale to BPE
v_cndmask_b32 v9, -1, v9, s[56:57]                 // clip if OOB. offset
v_lshrrev_b32 v17, 8, v23                          // vGWTmp = src >> 8
buffer_store_byte_d16_hi v17, v9, s[sgprSrdD:sgprSrdD+3], 0, offen, offset:0 // store D
s_waitcnt lgkmcnt(0)                               // wait for LDS read
_v_add_u32 v11, v5, 4                              // coord1 += nColPerLoad
_v_add_u32 v10, v4, 0                              // coord0 += element index of load vector
_v_add_u32 v9, v6, 4                               // offset coord1 += nColPerLoad
v_cmp_lt_u32 s[54:55], v10, s[sgprSizeI]           // coord0 < size0
v_cmp_lt_u32 s[56:57], v11, s[sgprSizeJ]           // coord1 < size1
s_and_b64 s[56:57], s[54:55], s[56:57]             // in0 && in1
v_mul_lo_u32 v9, v9, s[sgprStrideD1J]              // coord1 element offset =  coord1 * StrideD
_v_add_lshl_u32 v9, v9, v10, 0x0                   // scale to BPE
v_cndmask_b32 v9, -1, v9, s[56:57]                 // clip if OOB. offset
buffer_store_byte v24, v9, s[sgprSrdD:sgprSrdD+3], 0, offen, offset:0 // store D
_v_add_u32 v11, v5, 4                              // coord1 += nColPerLoad
_v_add_u32 v10, v4, 1                              // coord0 += element index of load vector
_v_add_u32 v9, v6, 4                               // offset coord1 += nColPerLoad
v_cmp_lt_u32 s[54:55], v10, s[sgprSizeI]           // coord0 < size0
v_cmp_lt_u32 s[56:57], v11, s[sgprSizeJ]           // coord1 < size1
s_and_b64 s[56:57], s[54:55], s[56:57]             // in0 && in1
v_mul_lo_u32 v9, v9, s[sgprStrideD1J]              // coord1 element offset =  coord1 * StrideD
_v_add_lshl_u32 v9, v9, v10, 0x0                   // scale to BPE
v_cndmask_b32 v9, -1, v9, s[56:57]                 // clip if OOB. offset
v_lshrrev_b32 v17, 8, v24                          // vGWTmp = src >> 8
buffer_store_byte v17, v9, s[sgprSrdD:sgprSrdD+3], 0, offen, offset:0 // store D
_v_add_u32 v11, v5, 4                              // coord1 += nColPerLoad
_v_add_u32 v10, v4, 2                              // coord0 += element index of load vector
_v_add_u32 v9, v6, 4                               // offset coord1 += nColPerLoad
v_cmp_lt_u32 s[54:55], v10, s[sgprSizeI]           // coord0 < size0
v_cmp_lt_u32 s[56:57], v11, s[sgprSizeJ]           // coord1 < size1
s_and_b64 s[56:57], s[54:55], s[56:57]             // in0 && in1
v_mul_lo_u32 v9, v9, s[sgprStrideD1J]              // coord1 element offset =  coord1 * StrideD
_v_add_lshl_u32 v9, v9, v10, 0x0                   // scale to BPE
v_cndmask_b32 v9, -1, v9, s[56:57]                 // clip if OOB. offset
buffer_store_byte_d16_hi v24, v9, s[sgprSrdD:sgprSrdD+3], 0, offen, offset:0 // store D
_v_add_u32 v11, v5, 4                              // coord1 += nColPerLoad
_v_add_u32 v10, v4, 3                              // coord0 += element index of load vector
_v_add_u32 v9, v6, 4                               // offset coord1 += nColPerLoad
v_cmp_lt_u32 s[54:55], v10, s[sgprSizeI]           // coord0 < size0
v_cmp_lt_u32 s[56:57], v11, s[sgprSizeJ]           // coord1 < size1
s_and_b64 s[56:57], s[54:55], s[56:57]             // in0 && in1
v_mul_lo_u32 v9, v9, s[sgprStrideD1J]              // coord1 element offset =  coord1 * StrideD
_v_add_lshl_u32 v9, v9, v10, 0x0                   // scale to BPE
v_cndmask_b32 v9, -1, v9, s[56:57]                 // clip if OOB. offset
v_lshrrev_b32 v17, 8, v24                          // vGWTmp = src >> 8
buffer_store_byte_d16_hi v17, v9, s[sgprSrdD:sgprSrdD+3], 0, offen, offset:0 // store D
_v_add_u32 v11, v5, 4                              // coord1 += nColPerLoad
_v_add_u32 v10, v4, 4                              // coord0 += element index of load vector
_v_add_u32 v9, v6, 4                               // offset coord1 += nColPerLoad
v_cmp_lt_u32 s[54:55], v10, s[sgprSizeI]           // coord0 < size0
v_cmp_lt_u32 s[56:57], v11, s[sgprSizeJ]           // coord1 < size1
s_and_b64 s[56:57], s[54:55], s[56:57]             // in0 && in1
v_mul_lo_u32 v9, v9, s[sgprStrideD1J]              // coord1 element offset =  coord1 * StrideD
_v_add_lshl_u32 v9, v9, v10, 0x0                   // scale to BPE
v_cndmask_b32 v9, -1, v9, s[56:57]                 // clip if OOB. offset
buffer_store_byte v25, v9, s[sgprSrdD:sgprSrdD+3], 0, offen, offset:0 // store D
_v_add_u32 v11, v5, 4                              // coord1 += nColPerLoad
_v_add_u32 v10, v4, 5                              // coord0 += element index of load vector
_v_add_u32 v9, v6, 4                               // offset coord1 += nColPerLoad
v_cmp_lt_u32 s[54:55], v10, s[sgprSizeI]           // coord0 < size0
v_cmp_lt_u32 s[56:57], v11, s[sgprSizeJ]           // coord1 < size1
s_and_b64 s[56:57], s[54:55], s[56:57]             // in0 && in1
v_mul_lo_u32 v9, v9, s[sgprStrideD1J]              // coord1 element offset =  coord1 * StrideD
_v_add_lshl_u32 v9, v9, v10, 0x0                   // scale to BPE
v_cndmask_b32 v9, -1, v9, s[56:57]                 // clip if OOB. offset
v_lshrrev_b32 v17, 8, v25                          // vGWTmp = src >> 8
buffer_store_byte v17, v9, s[sgprSrdD:sgprSrdD+3], 0, offen, offset:0 // store D
_v_add_u32 v11, v5, 4                              // coord1 += nColPerLoad
_v_add_u32 v10, v4, 6                              // coord0 += element index of load vector
_v_add_u32 v9, v6, 4                               // offset coord1 += nColPerLoad
v_cmp_lt_u32 s[54:55], v10, s[sgprSizeI]           // coord0 < size0
v_cmp_lt_u32 s[56:57], v11, s[sgprSizeJ]           // coord1 < size1
s_and_b64 s[56:57], s[54:55], s[56:57]             // in0 && in1
v_mul_lo_u32 v9, v9, s[sgprStrideD1J]              // coord1 element offset =  coord1 * StrideD
_v_add_lshl_u32 v9, v9, v10, 0x0                   // scale to BPE
v_cndmask_b32 v9, -1, v9, s[56:57]                 // clip if OOB. offset
buffer_store_byte_d16_hi v25, v9, s[sgprSrdD:sgprSrdD+3], 0, offen, offset:0 // store D
_v_add_u32 v11, v5, 4                              // coord1 += nColPerLoad
_v_add_u32 v10, v4, 7                              // coord0 += element index of load vector
_v_add_u32 v9, v6, 4                               // offset coord1 += nColPerLoad
v_cmp_lt_u32 s[54:55], v10, s[sgprSizeI]           // coord0 < size0
v_cmp_lt_u32 s[56:57], v11, s[sgprSizeJ]           // coord1 < size1
s_and_b64 s[56:57], s[54:55], s[56:57]             // in0 && in1
v_mul_lo_u32 v9, v9, s[sgprStrideD1J]              // coord1 element offset =  coord1 * StrideD
_v_add_lshl_u32 v9, v9, v10, 0x0                   // scale to BPE
v_cndmask_b32 v9, -1, v9, s[56:57]                 // clip if OOB. offset
v_lshrrev_b32 v17, 8, v25                          // vGWTmp = src >> 8
buffer_store_byte_d16_hi v17, v9, s[sgprSrdD:sgprSrdD+3], 0, offen, offset:0 // store D
_v_add_u32 v11, v5, 4                              // coord1 += nColPerLoad
_v_add_u32 v10, v4, 8                              // coord0 += element index of load vector
_v_add_u32 v9, v6, 4                               // offset coord1 += nColPerLoad
v_cmp_lt_u32 s[54:55], v10, s[sgprSizeI]           // coord0 < size0
v_cmp_lt_u32 s[56:57], v11, s[sgprSizeJ]           // coord1 < size1
s_and_b64 s[56:57], s[54:55], s[56:57]             // in0 && in1
v_mul_lo_u32 v9, v9, s[sgprStrideD1J]              // coord1 element offset =  coord1 * StrideD
_v_add_lshl_u32 v9, v9, v10, 0x0                   // scale to BPE
v_cndmask_b32 v9, -1, v9, s[56:57]                 // clip if OOB. offset
buffer_store_byte v26, v9, s[sgprSrdD:sgprSrdD+3], 0, offen, offset:0 // store D
_v_add_u32 v11, v5, 4                              // coord1 += nColPerLoad
_v_add_u32 v10, v4, 9                              // coord0 += element index of load vector
_v_add_u32 v9, v6, 4                               // offset coord1 += nColPerLoad
v_cmp_lt_u32 s[54:55], v10, s[sgprSizeI]           // coord0 < size0
v_cmp_lt_u32 s[56:57], v11, s[sgprSizeJ]           // coord1 < size1
s_and_b64 s[56:57], s[54:55], s[56:57]             // in0 && in1
v_mul_lo_u32 v9, v9, s[sgprStrideD1J]              // coord1 element offset =  coord1 * StrideD
_v_add_lshl_u32 v9, v9, v10, 0x0                   // scale to BPE
v_cndmask_b32 v9, -1, v9, s[56:57]                 // clip if OOB. offset
v_lshrrev_b32 v17, 8, v26                          // vGWTmp = src >> 8
buffer_store_byte v17, v9, s[sgprSrdD:sgprSrdD+3], 0, offen, offset:0 // store D
_v_add_u32 v11, v5, 4                              // coord1 += nColPerLoad
_v_add_u32 v10, v4, 10                             // coord0 += element index of load vector
_v_add_u32 v9, v6, 4                               // offset coord1 += nColPerLoad
v_cmp_lt_u32 s[54:55], v10, s[sgprSizeI]           // coord0 < size0
v_cmp_lt_u32 s[56:57], v11, s[sgprSizeJ]           // coord1 < size1
s_and_b64 s[56:57], s[54:55], s[56:57]             // in0 && in1
v_mul_lo_u32 v9, v9, s[sgprStrideD1J]              // coord1 element offset =  coord1 * StrideD
_v_add_lshl_u32 v9, v9, v10, 0x0                   // scale to BPE
v_cndmask_b32 v9, -1, v9, s[56:57]                 // clip if OOB. offset
buffer_store_byte_d16_hi v26, v9, s[sgprSrdD:sgprSrdD+3], 0, offen, offset:0 // store D
_v_add_u32 v11, v5, 4                              // coord1 += nColPerLoad
_v_add_u32 v10, v4, 11                             // coord0 += element index of load vector
_v_add_u32 v9, v6, 4                               // offset coord1 += nColPerLoad
v_cmp_lt_u32 s[54:55], v10, s[sgprSizeI]           // coord0 < size0
v_cmp_lt_u32 s[56:57], v11, s[sgprSizeJ]           // coord1 < size1
s_and_b64 s[56:57], s[54:55], s[56:57]             // in0 && in1
v_mul_lo_u32 v9, v9, s[sgprStrideD1J]              // coord1 element offset =  coord1 * StrideD
_v_add_lshl_u32 v9, v9, v10, 0x0                   // scale to BPE
v_cndmask_b32 v9, -1, v9, s[56:57]                 // clip if OOB. offset
v_lshrrev_b32 v17, 8, v26                          // vGWTmp = src >> 8
buffer_store_byte_d16_hi v17, v9, s[sgprSrdD:sgprSrdD+3], 0, offen, offset:0 // store D
_v_add_u32 v11, v5, 4                              // coord1 += nColPerLoad
_v_add_u32 v10, v4, 12                             // coord0 += element index of load vector
_v_add_u32 v9, v6, 4                               // offset coord1 += nColPerLoad
v_cmp_lt_u32 s[54:55], v10, s[sgprSizeI]           // coord0 < size0
v_cmp_lt_u32 s[56:57], v11, s[sgprSizeJ]           // coord1 < size1
s_and_b64 s[56:57], s[54:55], s[56:57]             // in0 && in1
v_mul_lo_u32 v9, v9, s[sgprStrideD1J]              // coord1 element offset =  coord1 * StrideD
_v_add_lshl_u32 v9, v9, v10, 0x0                   // scale to BPE
v_cndmask_b32 v9, -1, v9, s[56:57]                 // clip if OOB. offset
buffer_store_byte v27, v9, s[sgprSrdD:sgprSrdD+3], 0, offen, offset:0 // store D
_v_add_u32 v11, v5, 4                              // coord1 += nColPerLoad
_v_add_u32 v10, v4, 13                             // coord0 += element index of load vector
_v_add_u32 v9, v6, 4                               // offset coord1 += nColPerLoad
v_cmp_lt_u32 s[54:55], v10, s[sgprSizeI]           // coord0 < size0
v_cmp_lt_u32 s[56:57], v11, s[sgprSizeJ]           // coord1 < size1
s_and_b64 s[56:57], s[54:55], s[56:57]             // in0 && in1
v_mul_lo_u32 v9, v9, s[sgprStrideD1J]              // coord1 element offset =  coord1 * StrideD
_v_add_lshl_u32 v9, v9, v10, 0x0                   // scale to BPE
v_cndmask_b32 v9, -1, v9, s[56:57]                 // clip if OOB. offset
v_lshrrev_b32 v17, 8, v27                          // vGWTmp = src >> 8
buffer_store_byte v17, v9, s[sgprSrdD:sgprSrdD+3], 0, offen, offset:0 // store D
_v_add_u32 v11, v5, 4                              // coord1 += nColPerLoad
_v_add_u32 v10, v4, 14                             // coord0 += element index of load vector
_v_add_u32 v9, v6, 4                               // offset coord1 += nColPerLoad
v_cmp_lt_u32 s[54:55], v10, s[sgprSizeI]           // coord0 < size0
v_cmp_lt_u32 s[56:57], v11, s[sgprSizeJ]           // coord1 < size1
s_and_b64 s[56:57], s[54:55], s[56:57]             // in0 && in1
v_mul_lo_u32 v9, v9, s[sgprStrideD1J]              // coord1 element offset =  coord1 * StrideD
_v_add_lshl_u32 v9, v9, v10, 0x0                   // scale to BPE
v_cndmask_b32 v9, -1, v9, s[56:57]                 // clip if OOB. offset
buffer_store_byte_d16_hi v27, v9, s[sgprSrdD:sgprSrdD+3], 0, offen, offset:0 // store D
_v_add_u32 v11, v5, 4                              // coord1 += nColPerLoad
_v_add_u32 v10, v4, 15                             // coord0 += element index of load vector
_v_add_u32 v9, v6, 4                               // offset coord1 += nColPerLoad
v_cmp_lt_u32 s[54:55], v10, s[sgprSizeI]           // coord0 < size0
v_cmp_lt_u32 s[56:57], v11, s[sgprSizeJ]           // coord1 < size1
s_and_b64 s[56:57], s[54:55], s[56:57]             // in0 && in1
v_mul_lo_u32 v9, v9, s[sgprStrideD1J]              // coord1 element offset =  coord1 * StrideD
_v_add_lshl_u32 v9, v9, v10, 0x0                   // scale to BPE
v_cndmask_b32 v9, -1, v9, s[56:57]                 // clip if OOB. offset
v_lshrrev_b32 v17, 8, v27                          // vGWTmp = src >> 8
buffer_store_byte_d16_hi v17, v9, s[sgprSrdD:sgprSrdD+3], 0, offen, offset:0 // store D

s_barrier //wait all lds read finished
s_nop 0                                            // 1 wait state required when next inst writes vgprs held by previous dwordx4 store inst
/* optSingleColVgpr=0 optSharedColVgpr=0 optSGPRUsage=BufferLoad_Edge_Mask optSrdIncForRow=1 */

/******************************************/
/* Global Write Alpha Edge Batch #7 (d1,d0,vc1,vc0) = */
/*    (7,0,0,0:vw4); (7,1,0,0:vw4); (7,2,0,0:vw4); (7,3,0,0:vw4); (7,4,0,0:vw4); (7,5,0,0:vw4); (7,6,0,0:vw4); (7,7,0,0:vw4) */
/******************************************/

/* calc coords, apply mask, and issue loads (if necessary) */
/* (d1,vc1,d0,vc0)=(7,0,0,0) */
_v_add_co_u32 v1, vcc, v1, 32                      // coord1.1: coord1Vgpr += d1*sg1*VW + vc1
_v_add_lshl_u32 v9, v3, v0, 0x0                    // scaleToBpe: accumulate d0 lower and *= bpe into Cin addr
/* (d1,vc1,d0,vc0)=(7,0,1,0) */
_v_add_co_u32 v10, vcc, v0, 8                      // coord0.1: coord0 += d0*sg0*VW + vc0
_v_add_lshl_u32 v17, v3, v10, 0x0                  // scaleToBpe: accumulate d0 lower and *= bpe into Cin addr
/* (d1,vc1,d0,vc0)=(7,0,2,0) */
_v_add_co_u32 v10, vcc, v0, 16                     // coord0.1: coord0 += d0*sg0*VW + vc0
_v_add_lshl_u32 v18, v3, v10, 0x0                  // scaleToBpe: accumulate d0 lower and *= bpe into Cin addr
/* (d1,vc1,d0,vc0)=(7,0,3,0) */
_v_add_co_u32 v10, vcc, v0, 24                     // coord0.1: coord0 += d0*sg0*VW + vc0
_v_add_lshl_u32 v19, v3, v10, 0x0                  // scaleToBpe: accumulate d0 lower and *= bpe into Cin addr
/* (d1,vc1,d0,vc0)=(7,0,4,0) */
s_mov_b32 s54, 128                                 // coordOffset0 d0=4 vc0=0
_v_add_co_u32 v10, vcc, v0, s54                    // coord0.2: coord0 += d0*sg0*VW + vc0
_v_add_lshl_u32 v36, v3, v10, 0x0                  // scaleToBpe: accumulate d0 lower and *= bpe into Cin addr
/* (d1,vc1,d0,vc0)=(7,0,5,0) */
s_mov_b32 s54, 136                                 // coordOffset0 d0=5 vc0=0
_v_add_co_u32 v10, vcc, v0, s54                    // coord0.2: coord0 += d0*sg0*VW + vc0
	;; [unrolled: 4-line block ×4, first 2 shown]
_v_add_lshl_u32 v39, v3, v10, 0x0                  // scaleToBpe: accumulate d0 lower and *= bpe into Cin addr
v_accvgpr_read_b32 v[vgprValuC+20], acc224 // copy acc to vreg[224]
v_accvgpr_read_b32 v[vgprValuC+21], acc225 // copy acc to vreg[225]
v_accvgpr_read_b32 v[vgprValuC+22], acc226 // copy acc to vreg[226]
v_accvgpr_read_b32 v[vgprValuC+23], acc227 // copy acc to vreg[227]
v_accvgpr_read_b32 v[vgprValuC+24], acc228 // copy acc to vreg[228]
v_accvgpr_read_b32 v[vgprValuC+25], acc229 // copy acc to vreg[229]
v_accvgpr_read_b32 v[vgprValuC+26], acc230 // copy acc to vreg[230]
v_accvgpr_read_b32 v[vgprValuC+27], acc231 // copy acc to vreg[231]
v_accvgpr_read_b32 v[vgprValuC+28], acc232 // copy acc to vreg[232]
v_accvgpr_read_b32 v[vgprValuC+29], acc233 // copy acc to vreg[233]
v_accvgpr_read_b32 v[vgprValuC+30], acc234 // copy acc to vreg[234]
v_accvgpr_read_b32 v[vgprValuC+31], acc235 // copy acc to vreg[235]
v_accvgpr_read_b32 v[vgprValuC+32], acc236 // copy acc to vreg[236]
v_accvgpr_read_b32 v[vgprValuC+33], acc237 // copy acc to vreg[237]
v_accvgpr_read_b32 v[vgprValuC+34], acc238 // copy acc to vreg[238]
v_accvgpr_read_b32 v[vgprValuC+35], acc239 // copy acc to vreg[239]
v_accvgpr_read_b32 v[vgprValuC+40], acc240 // copy acc to vreg[240]
v_accvgpr_read_b32 v[vgprValuC+41], acc241 // copy acc to vreg[241]
v_accvgpr_read_b32 v[vgprValuC+42], acc242 // copy acc to vreg[242]
v_accvgpr_read_b32 v[vgprValuC+43], acc243 // copy acc to vreg[243]
v_accvgpr_read_b32 v[vgprValuC+44], acc244 // copy acc to vreg[244]
v_accvgpr_read_b32 v[vgprValuC+45], acc245 // copy acc to vreg[245]
v_accvgpr_read_b32 v[vgprValuC+46], acc246 // copy acc to vreg[246]
v_accvgpr_read_b32 v[vgprValuC+47], acc247 // copy acc to vreg[247]
v_accvgpr_read_b32 v[vgprValuC+48], acc248 // copy acc to vreg[248]
v_accvgpr_read_b32 v[vgprValuC+49], acc249 // copy acc to vreg[249]
v_accvgpr_read_b32 v[vgprValuC+50], acc250 // copy acc to vreg[250]
v_accvgpr_read_b32 v[vgprValuC+51], acc251 // copy acc to vreg[251]
v_accvgpr_read_b32 v[vgprValuC+52], acc252 // copy acc to vreg[252]
v_accvgpr_read_b32 v[vgprValuC+53], acc253 // copy acc to vreg[253]
v_accvgpr_read_b32 v[vgprValuC+54], acc254 // copy acc to vreg[254]
v_accvgpr_read_b32 v[vgprValuC+55], acc255 // copy acc to vreg[255]
s_nop 1                                            // 2 wait states required before reading vgpr

/* rC *= alpha batchElements=[(7, 0, 0, 0), (7, 1, 0, 0), (7, 2, 0, 0), (7, 3, 0, 0), (7, 4, 0, 0), (7, 5, 0, 0), (7, 6, 0, 0), (7, 7, 0, 0)] */
v_mul_f32 v[vgprValuC+20], s[sgprAlpha], v[vgprValuC+20] // *= alpha
v_mul_f32 v[vgprValuC+21], s[sgprAlpha], v[vgprValuC+21] // *= alpha
	;; [unrolled: 1-line block ×32, first 2 shown]

/* apply mask, calc new C and issue writes */
v_mov_b32 v16, 0x207                               // flag for Nan and +/- inf
v_mov_b32 v14, 0x43700000                          // save 240.0f as max for clipping
v_mov_b32 v15, 0xC3700000                          // save -240.0f as min for clipping

/* StoreRemap: shift coord1 address */
s_mul_i32 s54, s[sgprStrideD1J], 32                // scale StrideD *= numRows(32) * bpe
s_add_u32  s[sgprSrdD+0], s[sgprSrdD+0], s54       // incToNextRow: gra SRD += inc(lower)
s_addc_u32  s[sgprSrdD+1], s[sgprSrdD+1], 0        // incToNextRow: gra SRD += inc(upper)
v_mov_b32 v10, 32                                  // set shift rows
_v_add_u32 v5, v5, v10                             // shift storeRemap coord1
v_cmp_class_f32 s[54:55], v[vgprValuC+20], v16     // check NaN and +/-INF
v_med3_f32 v12, v[vgprValuC+20], v14, v15          // Clipping f32 value if exceeds the limit
v_cndmask_b32 v12, v12, v[vgprValuC+20], s[54:55]  // 
v_cmp_class_f32 s[54:55], v[vgprValuC+21], v16     // check NaN and +/-INF
v_med3_f32 v13, v[vgprValuC+21], v14, v15          // Clipping f32 value if exceeds the limit
v_cndmask_b32 v13, v13, v[vgprValuC+21], s[54:55]  // 
v_cvt_pk_fp8_f32  v20, v12, v13 op_sel:[0,0,0]     // convert two f32 accumulated values to fp8 and save it to lo_16[0:15]
v_cmp_class_f32 s[54:55], v[vgprValuC+22], v16     // check NaN and +/-INF
v_med3_f32 v12, v[vgprValuC+22], v14, v15          // Clipping f32 value if exceeds the limit
v_cndmask_b32 v12, v12, v[vgprValuC+22], s[54:55]  // 
v_cmp_class_f32 s[54:55], v[vgprValuC+23], v16     // check NaN and +/-INF
v_med3_f32 v13, v[vgprValuC+23], v14, v15          // Clipping f32 value if exceeds the limit
v_cndmask_b32 v13, v13, v[vgprValuC+23], s[54:55]  // 
v_cvt_pk_fp8_f32  v20, v12, v13 op_sel:[0,0,1]     // convert two f32 accumulated values to fp8 and save it to hi_16[16:31]
_ds_store_b32 v7, v20, offset:0                    // storeRemap lw
v_cmp_class_f32 s[54:55], v[vgprValuC+24], v16     // check NaN and +/-INF
v_med3_f32 v12, v[vgprValuC+24], v14, v15          // Clipping f32 value if exceeds the limit
v_cndmask_b32 v12, v12, v[vgprValuC+24], s[54:55]  // 
v_cmp_class_f32 s[54:55], v[vgprValuC+25], v16     // check NaN and +/-INF
v_med3_f32 v13, v[vgprValuC+25], v14, v15          // Clipping f32 value if exceeds the limit
v_cndmask_b32 v13, v13, v[vgprValuC+25], s[54:55]  // 
v_cvt_pk_fp8_f32  v24, v12, v13 op_sel:[0,0,0]     // convert two f32 accumulated values to fp8 and save it to lo_16[0:15]
v_cmp_class_f32 s[54:55], v[vgprValuC+26], v16     // check NaN and +/-INF
v_med3_f32 v12, v[vgprValuC+26], v14, v15          // Clipping f32 value if exceeds the limit
v_cndmask_b32 v12, v12, v[vgprValuC+26], s[54:55]  // 
v_cmp_class_f32 s[54:55], v[vgprValuC+27], v16     // check NaN and +/-INF
v_med3_f32 v13, v[vgprValuC+27], v14, v15          // Clipping f32 value if exceeds the limit
v_cndmask_b32 v13, v13, v[vgprValuC+27], s[54:55]  // 
v_cvt_pk_fp8_f32  v24, v12, v13 op_sel:[0,0,1]     // convert two f32 accumulated values to fp8 and save it to hi_16[16:31]
_ds_store_b32 v7, v24, offset:8                    // storeRemap lw
v_cmp_class_f32 s[54:55], v[vgprValuC+28], v16     // check NaN and +/-INF
v_med3_f32 v12, v[vgprValuC+28], v14, v15          // Clipping f32 value if exceeds the limit
v_cndmask_b32 v12, v12, v[vgprValuC+28], s[54:55]  // 
v_cmp_class_f32 s[54:55], v[vgprValuC+29], v16     // check NaN and +/-INF
v_med3_f32 v13, v[vgprValuC+29], v14, v15          // Clipping f32 value if exceeds the limit
v_cndmask_b32 v13, v13, v[vgprValuC+29], s[54:55]  // 
v_cvt_pk_fp8_f32  v28, v12, v13 op_sel:[0,0,0]     // convert two f32 accumulated values to fp8 and save it to lo_16[0:15]
v_cmp_class_f32 s[54:55], v[vgprValuC+30], v16     // check NaN and +/-INF
v_med3_f32 v12, v[vgprValuC+30], v14, v15          // Clipping f32 value if exceeds the limit
v_cndmask_b32 v12, v12, v[vgprValuC+30], s[54:55]  // 
v_cmp_class_f32 s[54:55], v[vgprValuC+31], v16     // check NaN and +/-INF
v_med3_f32 v13, v[vgprValuC+31], v14, v15          // Clipping f32 value if exceeds the limit
v_cndmask_b32 v13, v13, v[vgprValuC+31], s[54:55]  // 
v_cvt_pk_fp8_f32  v28, v12, v13 op_sel:[0,0,1]     // convert two f32 accumulated values to fp8 and save it to hi_16[16:31]
_ds_store_b32 v7, v28, offset:16                   // storeRemap lw
v_cmp_class_f32 s[54:55], v[vgprValuC+32], v16     // check NaN and +/-INF
v_med3_f32 v12, v[vgprValuC+32], v14, v15          // Clipping f32 value if exceeds the limit
v_cndmask_b32 v12, v12, v[vgprValuC+32], s[54:55]  // 
v_cmp_class_f32 s[54:55], v[vgprValuC+33], v16     // check NaN and +/-INF
v_med3_f32 v13, v[vgprValuC+33], v14, v15          // Clipping f32 value if exceeds the limit
v_cndmask_b32 v13, v13, v[vgprValuC+33], s[54:55]  // 
v_cvt_pk_fp8_f32  v32, v12, v13 op_sel:[0,0,0]     // convert two f32 accumulated values to fp8 and save it to lo_16[0:15]
v_cmp_class_f32 s[54:55], v[vgprValuC+34], v16     // check NaN and +/-INF
v_med3_f32 v12, v[vgprValuC+34], v14, v15          // Clipping f32 value if exceeds the limit
v_cndmask_b32 v12, v12, v[vgprValuC+34], s[54:55]  // 
v_cmp_class_f32 s[54:55], v[vgprValuC+35], v16     // check NaN and +/-INF
v_med3_f32 v13, v[vgprValuC+35], v14, v15          // Clipping f32 value if exceeds the limit
v_cndmask_b32 v13, v13, v[vgprValuC+35], s[54:55]  // 
v_cvt_pk_fp8_f32  v32, v12, v13 op_sel:[0,0,1]     // convert two f32 accumulated values to fp8 and save it to hi_16[16:31]
_ds_store_b32 v7, v32, offset:24                   // storeRemap lw
v_cmp_class_f32 s[54:55], v[vgprValuC+40], v16     // check NaN and +/-INF
v_med3_f32 v12, v[vgprValuC+40], v14, v15          // Clipping f32 value if exceeds the limit
v_cndmask_b32 v12, v12, v[vgprValuC+40], s[54:55]  // 
v_cmp_class_f32 s[54:55], v[vgprValuC+41], v16     // check NaN and +/-INF
v_med3_f32 v13, v[vgprValuC+41], v14, v15          // Clipping f32 value if exceeds the limit
v_cndmask_b32 v13, v13, v[vgprValuC+41], s[54:55]  // 
v_cvt_pk_fp8_f32  v40, v12, v13 op_sel:[0,0,0]     // convert two f32 accumulated values to fp8 and save it to lo_16[0:15]
v_cmp_class_f32 s[54:55], v[vgprValuC+42], v16     // check NaN and +/-INF
v_med3_f32 v12, v[vgprValuC+42], v14, v15          // Clipping f32 value if exceeds the limit
v_cndmask_b32 v12, v12, v[vgprValuC+42], s[54:55]  // 
v_cmp_class_f32 s[54:55], v[vgprValuC+43], v16     // check NaN and +/-INF
v_med3_f32 v13, v[vgprValuC+43], v14, v15          // Clipping f32 value if exceeds the limit
v_cndmask_b32 v13, v13, v[vgprValuC+43], s[54:55]  // 
v_cvt_pk_fp8_f32  v40, v12, v13 op_sel:[0,0,1]     // convert two f32 accumulated values to fp8 and save it to hi_16[16:31]
_ds_store_b32 v7, v40, offset:128                  // storeRemap lw
v_cmp_class_f32 s[54:55], v[vgprValuC+44], v16     // check NaN and +/-INF
v_med3_f32 v12, v[vgprValuC+44], v14, v15          // Clipping f32 value if exceeds the limit
v_cndmask_b32 v12, v12, v[vgprValuC+44], s[54:55]  // 
v_cmp_class_f32 s[54:55], v[vgprValuC+45], v16     // check NaN and +/-INF
v_med3_f32 v13, v[vgprValuC+45], v14, v15          // Clipping f32 value if exceeds the limit
v_cndmask_b32 v13, v13, v[vgprValuC+45], s[54:55]  // 
v_cvt_pk_fp8_f32  v44, v12, v13 op_sel:[0,0,0]     // convert two f32 accumulated values to fp8 and save it to lo_16[0:15]
v_cmp_class_f32 s[54:55], v[vgprValuC+46], v16     // check NaN and +/-INF
v_med3_f32 v12, v[vgprValuC+46], v14, v15          // Clipping f32 value if exceeds the limit
v_cndmask_b32 v12, v12, v[vgprValuC+46], s[54:55]  // 
v_cmp_class_f32 s[54:55], v[vgprValuC+47], v16     // check NaN and +/-INF
v_med3_f32 v13, v[vgprValuC+47], v14, v15          // Clipping f32 value if exceeds the limit
v_cndmask_b32 v13, v13, v[vgprValuC+47], s[54:55]  // 
v_cvt_pk_fp8_f32  v44, v12, v13 op_sel:[0,0,1]     // convert two f32 accumulated values to fp8 and save it to hi_16[16:31]
_ds_store_b32 v7, v44, offset:136                  // storeRemap lw
	;; [unrolled: 15-line block ×4, first 2 shown]

/* Handle local read and global write */
s_waitcnt lgkmcnt(0)                               // wait for LDS write
s_barrier //wait all lds write finished

_ds_load_b128 v[20:23], v8, offset:0               // storeRemap lr
_ds_load_b128 v[24:27], v8, offset:1088            // storeRemap lr

s_waitcnt lgkmcnt(1)                               // wait for LDS read
_v_add_u32 v11, v5, 0                              // coord1 += nColPerLoad
_v_add_u32 v10, v4, 0                              // coord0 += element index of load vector
_v_add_u32 v9, v6, 0                               // offset coord1 += nColPerLoad
v_cmp_lt_u32 s[54:55], v10, s[sgprSizeI]           // coord0 < size0
v_cmp_lt_u32 s[56:57], v11, s[sgprSizeJ]           // coord1 < size1
s_and_b64 s[56:57], s[54:55], s[56:57]             // in0 && in1
v_mul_lo_u32 v9, v9, s[sgprStrideD1J]              // coord1 element offset =  coord1 * StrideD
_v_add_lshl_u32 v9, v9, v10, 0x0                   // scale to BPE
v_cndmask_b32 v9, -1, v9, s[56:57]                 // clip if OOB. offset
buffer_store_byte v20, v9, s[sgprSrdD:sgprSrdD+3], 0, offen, offset:0 // store D
_v_add_u32 v11, v5, 0                              // coord1 += nColPerLoad
_v_add_u32 v10, v4, 1                              // coord0 += element index of load vector
_v_add_u32 v9, v6, 0                               // offset coord1 += nColPerLoad
v_cmp_lt_u32 s[54:55], v10, s[sgprSizeI]           // coord0 < size0
v_cmp_lt_u32 s[56:57], v11, s[sgprSizeJ]           // coord1 < size1
s_and_b64 s[56:57], s[54:55], s[56:57]             // in0 && in1
v_mul_lo_u32 v9, v9, s[sgprStrideD1J]              // coord1 element offset =  coord1 * StrideD
_v_add_lshl_u32 v9, v9, v10, 0x0                   // scale to BPE
v_cndmask_b32 v9, -1, v9, s[56:57]                 // clip if OOB. offset
v_lshrrev_b32 v17, 8, v20                          // vGWTmp = src >> 8
buffer_store_byte v17, v9, s[sgprSrdD:sgprSrdD+3], 0, offen, offset:0 // store D
_v_add_u32 v11, v5, 0                              // coord1 += nColPerLoad
_v_add_u32 v10, v4, 2                              // coord0 += element index of load vector
_v_add_u32 v9, v6, 0                               // offset coord1 += nColPerLoad
v_cmp_lt_u32 s[54:55], v10, s[sgprSizeI]           // coord0 < size0
v_cmp_lt_u32 s[56:57], v11, s[sgprSizeJ]           // coord1 < size1
s_and_b64 s[56:57], s[54:55], s[56:57]             // in0 && in1
v_mul_lo_u32 v9, v9, s[sgprStrideD1J]              // coord1 element offset =  coord1 * StrideD
_v_add_lshl_u32 v9, v9, v10, 0x0                   // scale to BPE
v_cndmask_b32 v9, -1, v9, s[56:57]                 // clip if OOB. offset
buffer_store_byte_d16_hi v20, v9, s[sgprSrdD:sgprSrdD+3], 0, offen, offset:0 // store D
_v_add_u32 v11, v5, 0                              // coord1 += nColPerLoad
_v_add_u32 v10, v4, 3                              // coord0 += element index of load vector
_v_add_u32 v9, v6, 0                               // offset coord1 += nColPerLoad
v_cmp_lt_u32 s[54:55], v10, s[sgprSizeI]           // coord0 < size0
v_cmp_lt_u32 s[56:57], v11, s[sgprSizeJ]           // coord1 < size1
s_and_b64 s[56:57], s[54:55], s[56:57]             // in0 && in1
v_mul_lo_u32 v9, v9, s[sgprStrideD1J]              // coord1 element offset =  coord1 * StrideD
_v_add_lshl_u32 v9, v9, v10, 0x0                   // scale to BPE
v_cndmask_b32 v9, -1, v9, s[56:57]                 // clip if OOB. offset
v_lshrrev_b32 v17, 8, v20                          // vGWTmp = src >> 8
buffer_store_byte_d16_hi v17, v9, s[sgprSrdD:sgprSrdD+3], 0, offen, offset:0 // store D
_v_add_u32 v11, v5, 0                              // coord1 += nColPerLoad
_v_add_u32 v10, v4, 4                              // coord0 += element index of load vector
_v_add_u32 v9, v6, 0                               // offset coord1 += nColPerLoad
v_cmp_lt_u32 s[54:55], v10, s[sgprSizeI]           // coord0 < size0
v_cmp_lt_u32 s[56:57], v11, s[sgprSizeJ]           // coord1 < size1
s_and_b64 s[56:57], s[54:55], s[56:57]             // in0 && in1
v_mul_lo_u32 v9, v9, s[sgprStrideD1J]              // coord1 element offset =  coord1 * StrideD
_v_add_lshl_u32 v9, v9, v10, 0x0                   // scale to BPE
v_cndmask_b32 v9, -1, v9, s[56:57]                 // clip if OOB. offset
buffer_store_byte v21, v9, s[sgprSrdD:sgprSrdD+3], 0, offen, offset:0 // store D
_v_add_u32 v11, v5, 0                              // coord1 += nColPerLoad
_v_add_u32 v10, v4, 5                              // coord0 += element index of load vector
_v_add_u32 v9, v6, 0                               // offset coord1 += nColPerLoad
v_cmp_lt_u32 s[54:55], v10, s[sgprSizeI]           // coord0 < size0
v_cmp_lt_u32 s[56:57], v11, s[sgprSizeJ]           // coord1 < size1
s_and_b64 s[56:57], s[54:55], s[56:57]             // in0 && in1
v_mul_lo_u32 v9, v9, s[sgprStrideD1J]              // coord1 element offset =  coord1 * StrideD
_v_add_lshl_u32 v9, v9, v10, 0x0                   // scale to BPE
v_cndmask_b32 v9, -1, v9, s[56:57]                 // clip if OOB. offset
v_lshrrev_b32 v17, 8, v21                          // vGWTmp = src >> 8
buffer_store_byte v17, v9, s[sgprSrdD:sgprSrdD+3], 0, offen, offset:0 // store D
_v_add_u32 v11, v5, 0                              // coord1 += nColPerLoad
_v_add_u32 v10, v4, 6                              // coord0 += element index of load vector
_v_add_u32 v9, v6, 0                               // offset coord1 += nColPerLoad
v_cmp_lt_u32 s[54:55], v10, s[sgprSizeI]           // coord0 < size0
v_cmp_lt_u32 s[56:57], v11, s[sgprSizeJ]           // coord1 < size1
s_and_b64 s[56:57], s[54:55], s[56:57]             // in0 && in1
v_mul_lo_u32 v9, v9, s[sgprStrideD1J]              // coord1 element offset =  coord1 * StrideD
_v_add_lshl_u32 v9, v9, v10, 0x0                   // scale to BPE
v_cndmask_b32 v9, -1, v9, s[56:57]                 // clip if OOB. offset
buffer_store_byte_d16_hi v21, v9, s[sgprSrdD:sgprSrdD+3], 0, offen, offset:0 // store D
_v_add_u32 v11, v5, 0                              // coord1 += nColPerLoad
_v_add_u32 v10, v4, 7                              // coord0 += element index of load vector
_v_add_u32 v9, v6, 0                               // offset coord1 += nColPerLoad
v_cmp_lt_u32 s[54:55], v10, s[sgprSizeI]           // coord0 < size0
v_cmp_lt_u32 s[56:57], v11, s[sgprSizeJ]           // coord1 < size1
s_and_b64 s[56:57], s[54:55], s[56:57]             // in0 && in1
v_mul_lo_u32 v9, v9, s[sgprStrideD1J]              // coord1 element offset =  coord1 * StrideD
_v_add_lshl_u32 v9, v9, v10, 0x0                   // scale to BPE
v_cndmask_b32 v9, -1, v9, s[56:57]                 // clip if OOB. offset
v_lshrrev_b32 v17, 8, v21                          // vGWTmp = src >> 8
buffer_store_byte_d16_hi v17, v9, s[sgprSrdD:sgprSrdD+3], 0, offen, offset:0 // store D
_v_add_u32 v11, v5, 0                              // coord1 += nColPerLoad
_v_add_u32 v10, v4, 8                              // coord0 += element index of load vector
_v_add_u32 v9, v6, 0                               // offset coord1 += nColPerLoad
v_cmp_lt_u32 s[54:55], v10, s[sgprSizeI]           // coord0 < size0
v_cmp_lt_u32 s[56:57], v11, s[sgprSizeJ]           // coord1 < size1
s_and_b64 s[56:57], s[54:55], s[56:57]             // in0 && in1
v_mul_lo_u32 v9, v9, s[sgprStrideD1J]              // coord1 element offset =  coord1 * StrideD
_v_add_lshl_u32 v9, v9, v10, 0x0                   // scale to BPE
v_cndmask_b32 v9, -1, v9, s[56:57]                 // clip if OOB. offset
buffer_store_byte v22, v9, s[sgprSrdD:sgprSrdD+3], 0, offen, offset:0 // store D
_v_add_u32 v11, v5, 0                              // coord1 += nColPerLoad
_v_add_u32 v10, v4, 9                              // coord0 += element index of load vector
_v_add_u32 v9, v6, 0                               // offset coord1 += nColPerLoad
v_cmp_lt_u32 s[54:55], v10, s[sgprSizeI]           // coord0 < size0
v_cmp_lt_u32 s[56:57], v11, s[sgprSizeJ]           // coord1 < size1
s_and_b64 s[56:57], s[54:55], s[56:57]             // in0 && in1
v_mul_lo_u32 v9, v9, s[sgprStrideD1J]              // coord1 element offset =  coord1 * StrideD
_v_add_lshl_u32 v9, v9, v10, 0x0                   // scale to BPE
v_cndmask_b32 v9, -1, v9, s[56:57]                 // clip if OOB. offset
v_lshrrev_b32 v17, 8, v22                          // vGWTmp = src >> 8
buffer_store_byte v17, v9, s[sgprSrdD:sgprSrdD+3], 0, offen, offset:0 // store D
_v_add_u32 v11, v5, 0                              // coord1 += nColPerLoad
_v_add_u32 v10, v4, 10                             // coord0 += element index of load vector
_v_add_u32 v9, v6, 0                               // offset coord1 += nColPerLoad
v_cmp_lt_u32 s[54:55], v10, s[sgprSizeI]           // coord0 < size0
v_cmp_lt_u32 s[56:57], v11, s[sgprSizeJ]           // coord1 < size1
s_and_b64 s[56:57], s[54:55], s[56:57]             // in0 && in1
v_mul_lo_u32 v9, v9, s[sgprStrideD1J]              // coord1 element offset =  coord1 * StrideD
_v_add_lshl_u32 v9, v9, v10, 0x0                   // scale to BPE
v_cndmask_b32 v9, -1, v9, s[56:57]                 // clip if OOB. offset
buffer_store_byte_d16_hi v22, v9, s[sgprSrdD:sgprSrdD+3], 0, offen, offset:0 // store D
_v_add_u32 v11, v5, 0                              // coord1 += nColPerLoad
_v_add_u32 v10, v4, 11                             // coord0 += element index of load vector
_v_add_u32 v9, v6, 0                               // offset coord1 += nColPerLoad
v_cmp_lt_u32 s[54:55], v10, s[sgprSizeI]           // coord0 < size0
v_cmp_lt_u32 s[56:57], v11, s[sgprSizeJ]           // coord1 < size1
s_and_b64 s[56:57], s[54:55], s[56:57]             // in0 && in1
v_mul_lo_u32 v9, v9, s[sgprStrideD1J]              // coord1 element offset =  coord1 * StrideD
_v_add_lshl_u32 v9, v9, v10, 0x0                   // scale to BPE
v_cndmask_b32 v9, -1, v9, s[56:57]                 // clip if OOB. offset
v_lshrrev_b32 v17, 8, v22                          // vGWTmp = src >> 8
buffer_store_byte_d16_hi v17, v9, s[sgprSrdD:sgprSrdD+3], 0, offen, offset:0 // store D
_v_add_u32 v11, v5, 0                              // coord1 += nColPerLoad
_v_add_u32 v10, v4, 12                             // coord0 += element index of load vector
_v_add_u32 v9, v6, 0                               // offset coord1 += nColPerLoad
v_cmp_lt_u32 s[54:55], v10, s[sgprSizeI]           // coord0 < size0
v_cmp_lt_u32 s[56:57], v11, s[sgprSizeJ]           // coord1 < size1
s_and_b64 s[56:57], s[54:55], s[56:57]             // in0 && in1
v_mul_lo_u32 v9, v9, s[sgprStrideD1J]              // coord1 element offset =  coord1 * StrideD
_v_add_lshl_u32 v9, v9, v10, 0x0                   // scale to BPE
v_cndmask_b32 v9, -1, v9, s[56:57]                 // clip if OOB. offset
buffer_store_byte v23, v9, s[sgprSrdD:sgprSrdD+3], 0, offen, offset:0 // store D
_v_add_u32 v11, v5, 0                              // coord1 += nColPerLoad
_v_add_u32 v10, v4, 13                             // coord0 += element index of load vector
_v_add_u32 v9, v6, 0                               // offset coord1 += nColPerLoad
v_cmp_lt_u32 s[54:55], v10, s[sgprSizeI]           // coord0 < size0
v_cmp_lt_u32 s[56:57], v11, s[sgprSizeJ]           // coord1 < size1
s_and_b64 s[56:57], s[54:55], s[56:57]             // in0 && in1
v_mul_lo_u32 v9, v9, s[sgprStrideD1J]              // coord1 element offset =  coord1 * StrideD
_v_add_lshl_u32 v9, v9, v10, 0x0                   // scale to BPE
v_cndmask_b32 v9, -1, v9, s[56:57]                 // clip if OOB. offset
v_lshrrev_b32 v17, 8, v23                          // vGWTmp = src >> 8
buffer_store_byte v17, v9, s[sgprSrdD:sgprSrdD+3], 0, offen, offset:0 // store D
_v_add_u32 v11, v5, 0                              // coord1 += nColPerLoad
_v_add_u32 v10, v4, 14                             // coord0 += element index of load vector
_v_add_u32 v9, v6, 0                               // offset coord1 += nColPerLoad
v_cmp_lt_u32 s[54:55], v10, s[sgprSizeI]           // coord0 < size0
v_cmp_lt_u32 s[56:57], v11, s[sgprSizeJ]           // coord1 < size1
s_and_b64 s[56:57], s[54:55], s[56:57]             // in0 && in1
v_mul_lo_u32 v9, v9, s[sgprStrideD1J]              // coord1 element offset =  coord1 * StrideD
_v_add_lshl_u32 v9, v9, v10, 0x0                   // scale to BPE
v_cndmask_b32 v9, -1, v9, s[56:57]                 // clip if OOB. offset
buffer_store_byte_d16_hi v23, v9, s[sgprSrdD:sgprSrdD+3], 0, offen, offset:0 // store D
_v_add_u32 v11, v5, 0                              // coord1 += nColPerLoad
_v_add_u32 v10, v4, 15                             // coord0 += element index of load vector
_v_add_u32 v9, v6, 0                               // offset coord1 += nColPerLoad
v_cmp_lt_u32 s[54:55], v10, s[sgprSizeI]           // coord0 < size0
v_cmp_lt_u32 s[56:57], v11, s[sgprSizeJ]           // coord1 < size1
s_and_b64 s[56:57], s[54:55], s[56:57]             // in0 && in1
v_mul_lo_u32 v9, v9, s[sgprStrideD1J]              // coord1 element offset =  coord1 * StrideD
_v_add_lshl_u32 v9, v9, v10, 0x0                   // scale to BPE
v_cndmask_b32 v9, -1, v9, s[56:57]                 // clip if OOB. offset
v_lshrrev_b32 v17, 8, v23                          // vGWTmp = src >> 8
buffer_store_byte_d16_hi v17, v9, s[sgprSrdD:sgprSrdD+3], 0, offen, offset:0 // store D
s_waitcnt lgkmcnt(0)                               // wait for LDS read
_v_add_u32 v11, v5, 4                              // coord1 += nColPerLoad
_v_add_u32 v10, v4, 0                              // coord0 += element index of load vector
_v_add_u32 v9, v6, 4                               // offset coord1 += nColPerLoad
v_cmp_lt_u32 s[54:55], v10, s[sgprSizeI]           // coord0 < size0
v_cmp_lt_u32 s[56:57], v11, s[sgprSizeJ]           // coord1 < size1
s_and_b64 s[56:57], s[54:55], s[56:57]             // in0 && in1
v_mul_lo_u32 v9, v9, s[sgprStrideD1J]              // coord1 element offset =  coord1 * StrideD
_v_add_lshl_u32 v9, v9, v10, 0x0                   // scale to BPE
v_cndmask_b32 v9, -1, v9, s[56:57]                 // clip if OOB. offset
buffer_store_byte v24, v9, s[sgprSrdD:sgprSrdD+3], 0, offen, offset:0 // store D
_v_add_u32 v11, v5, 4                              // coord1 += nColPerLoad
_v_add_u32 v10, v4, 1                              // coord0 += element index of load vector
_v_add_u32 v9, v6, 4                               // offset coord1 += nColPerLoad
v_cmp_lt_u32 s[54:55], v10, s[sgprSizeI]           // coord0 < size0
v_cmp_lt_u32 s[56:57], v11, s[sgprSizeJ]           // coord1 < size1
s_and_b64 s[56:57], s[54:55], s[56:57]             // in0 && in1
v_mul_lo_u32 v9, v9, s[sgprStrideD1J]              // coord1 element offset =  coord1 * StrideD
_v_add_lshl_u32 v9, v9, v10, 0x0                   // scale to BPE
v_cndmask_b32 v9, -1, v9, s[56:57]                 // clip if OOB. offset
v_lshrrev_b32 v17, 8, v24                          // vGWTmp = src >> 8
buffer_store_byte v17, v9, s[sgprSrdD:sgprSrdD+3], 0, offen, offset:0 // store D
_v_add_u32 v11, v5, 4                              // coord1 += nColPerLoad
_v_add_u32 v10, v4, 2                              // coord0 += element index of load vector
_v_add_u32 v9, v6, 4                               // offset coord1 += nColPerLoad
v_cmp_lt_u32 s[54:55], v10, s[sgprSizeI]           // coord0 < size0
v_cmp_lt_u32 s[56:57], v11, s[sgprSizeJ]           // coord1 < size1
s_and_b64 s[56:57], s[54:55], s[56:57]             // in0 && in1
v_mul_lo_u32 v9, v9, s[sgprStrideD1J]              // coord1 element offset =  coord1 * StrideD
_v_add_lshl_u32 v9, v9, v10, 0x0                   // scale to BPE
v_cndmask_b32 v9, -1, v9, s[56:57]                 // clip if OOB. offset
buffer_store_byte_d16_hi v24, v9, s[sgprSrdD:sgprSrdD+3], 0, offen, offset:0 // store D
_v_add_u32 v11, v5, 4                              // coord1 += nColPerLoad
_v_add_u32 v10, v4, 3                              // coord0 += element index of load vector
_v_add_u32 v9, v6, 4                               // offset coord1 += nColPerLoad
v_cmp_lt_u32 s[54:55], v10, s[sgprSizeI]           // coord0 < size0
v_cmp_lt_u32 s[56:57], v11, s[sgprSizeJ]           // coord1 < size1
s_and_b64 s[56:57], s[54:55], s[56:57]             // in0 && in1
v_mul_lo_u32 v9, v9, s[sgprStrideD1J]              // coord1 element offset =  coord1 * StrideD
_v_add_lshl_u32 v9, v9, v10, 0x0                   // scale to BPE
v_cndmask_b32 v9, -1, v9, s[56:57]                 // clip if OOB. offset
v_lshrrev_b32 v17, 8, v24                          // vGWTmp = src >> 8
buffer_store_byte_d16_hi v17, v9, s[sgprSrdD:sgprSrdD+3], 0, offen, offset:0 // store D
_v_add_u32 v11, v5, 4                              // coord1 += nColPerLoad
_v_add_u32 v10, v4, 4                              // coord0 += element index of load vector
_v_add_u32 v9, v6, 4                               // offset coord1 += nColPerLoad
v_cmp_lt_u32 s[54:55], v10, s[sgprSizeI]           // coord0 < size0
v_cmp_lt_u32 s[56:57], v11, s[sgprSizeJ]           // coord1 < size1
s_and_b64 s[56:57], s[54:55], s[56:57]             // in0 && in1
v_mul_lo_u32 v9, v9, s[sgprStrideD1J]              // coord1 element offset =  coord1 * StrideD
_v_add_lshl_u32 v9, v9, v10, 0x0                   // scale to BPE
v_cndmask_b32 v9, -1, v9, s[56:57]                 // clip if OOB. offset
buffer_store_byte v25, v9, s[sgprSrdD:sgprSrdD+3], 0, offen, offset:0 // store D
_v_add_u32 v11, v5, 4                              // coord1 += nColPerLoad
_v_add_u32 v10, v4, 5                              // coord0 += element index of load vector
_v_add_u32 v9, v6, 4                               // offset coord1 += nColPerLoad
v_cmp_lt_u32 s[54:55], v10, s[sgprSizeI]           // coord0 < size0
v_cmp_lt_u32 s[56:57], v11, s[sgprSizeJ]           // coord1 < size1
s_and_b64 s[56:57], s[54:55], s[56:57]             // in0 && in1
v_mul_lo_u32 v9, v9, s[sgprStrideD1J]              // coord1 element offset =  coord1 * StrideD
_v_add_lshl_u32 v9, v9, v10, 0x0                   // scale to BPE
v_cndmask_b32 v9, -1, v9, s[56:57]                 // clip if OOB. offset
v_lshrrev_b32 v17, 8, v25                          // vGWTmp = src >> 8
buffer_store_byte v17, v9, s[sgprSrdD:sgprSrdD+3], 0, offen, offset:0 // store D
_v_add_u32 v11, v5, 4                              // coord1 += nColPerLoad
_v_add_u32 v10, v4, 6                              // coord0 += element index of load vector
_v_add_u32 v9, v6, 4                               // offset coord1 += nColPerLoad
v_cmp_lt_u32 s[54:55], v10, s[sgprSizeI]           // coord0 < size0
v_cmp_lt_u32 s[56:57], v11, s[sgprSizeJ]           // coord1 < size1
s_and_b64 s[56:57], s[54:55], s[56:57]             // in0 && in1
v_mul_lo_u32 v9, v9, s[sgprStrideD1J]              // coord1 element offset =  coord1 * StrideD
_v_add_lshl_u32 v9, v9, v10, 0x0                   // scale to BPE
v_cndmask_b32 v9, -1, v9, s[56:57]                 // clip if OOB. offset
buffer_store_byte_d16_hi v25, v9, s[sgprSrdD:sgprSrdD+3], 0, offen, offset:0 // store D
_v_add_u32 v11, v5, 4                              // coord1 += nColPerLoad
_v_add_u32 v10, v4, 7                              // coord0 += element index of load vector
_v_add_u32 v9, v6, 4                               // offset coord1 += nColPerLoad
v_cmp_lt_u32 s[54:55], v10, s[sgprSizeI]           // coord0 < size0
v_cmp_lt_u32 s[56:57], v11, s[sgprSizeJ]           // coord1 < size1
s_and_b64 s[56:57], s[54:55], s[56:57]             // in0 && in1
v_mul_lo_u32 v9, v9, s[sgprStrideD1J]              // coord1 element offset =  coord1 * StrideD
_v_add_lshl_u32 v9, v9, v10, 0x0                   // scale to BPE
v_cndmask_b32 v9, -1, v9, s[56:57]                 // clip if OOB. offset
v_lshrrev_b32 v17, 8, v25                          // vGWTmp = src >> 8
buffer_store_byte_d16_hi v17, v9, s[sgprSrdD:sgprSrdD+3], 0, offen, offset:0 // store D
_v_add_u32 v11, v5, 4                              // coord1 += nColPerLoad
_v_add_u32 v10, v4, 8                              // coord0 += element index of load vector
_v_add_u32 v9, v6, 4                               // offset coord1 += nColPerLoad
v_cmp_lt_u32 s[54:55], v10, s[sgprSizeI]           // coord0 < size0
v_cmp_lt_u32 s[56:57], v11, s[sgprSizeJ]           // coord1 < size1
s_and_b64 s[56:57], s[54:55], s[56:57]             // in0 && in1
v_mul_lo_u32 v9, v9, s[sgprStrideD1J]              // coord1 element offset =  coord1 * StrideD
_v_add_lshl_u32 v9, v9, v10, 0x0                   // scale to BPE
v_cndmask_b32 v9, -1, v9, s[56:57]                 // clip if OOB. offset
buffer_store_byte v26, v9, s[sgprSrdD:sgprSrdD+3], 0, offen, offset:0 // store D
_v_add_u32 v11, v5, 4                              // coord1 += nColPerLoad
_v_add_u32 v10, v4, 9                              // coord0 += element index of load vector
_v_add_u32 v9, v6, 4                               // offset coord1 += nColPerLoad
v_cmp_lt_u32 s[54:55], v10, s[sgprSizeI]           // coord0 < size0
v_cmp_lt_u32 s[56:57], v11, s[sgprSizeJ]           // coord1 < size1
s_and_b64 s[56:57], s[54:55], s[56:57]             // in0 && in1
v_mul_lo_u32 v9, v9, s[sgprStrideD1J]              // coord1 element offset =  coord1 * StrideD
_v_add_lshl_u32 v9, v9, v10, 0x0                   // scale to BPE
v_cndmask_b32 v9, -1, v9, s[56:57]                 // clip if OOB. offset
v_lshrrev_b32 v17, 8, v26                          // vGWTmp = src >> 8
buffer_store_byte v17, v9, s[sgprSrdD:sgprSrdD+3], 0, offen, offset:0 // store D
_v_add_u32 v11, v5, 4                              // coord1 += nColPerLoad
_v_add_u32 v10, v4, 10                             // coord0 += element index of load vector
_v_add_u32 v9, v6, 4                               // offset coord1 += nColPerLoad
v_cmp_lt_u32 s[54:55], v10, s[sgprSizeI]           // coord0 < size0
v_cmp_lt_u32 s[56:57], v11, s[sgprSizeJ]           // coord1 < size1
s_and_b64 s[56:57], s[54:55], s[56:57]             // in0 && in1
v_mul_lo_u32 v9, v9, s[sgprStrideD1J]              // coord1 element offset =  coord1 * StrideD
_v_add_lshl_u32 v9, v9, v10, 0x0                   // scale to BPE
v_cndmask_b32 v9, -1, v9, s[56:57]                 // clip if OOB. offset
buffer_store_byte_d16_hi v26, v9, s[sgprSrdD:sgprSrdD+3], 0, offen, offset:0 // store D
_v_add_u32 v11, v5, 4                              // coord1 += nColPerLoad
_v_add_u32 v10, v4, 11                             // coord0 += element index of load vector
_v_add_u32 v9, v6, 4                               // offset coord1 += nColPerLoad
v_cmp_lt_u32 s[54:55], v10, s[sgprSizeI]           // coord0 < size0
v_cmp_lt_u32 s[56:57], v11, s[sgprSizeJ]           // coord1 < size1
s_and_b64 s[56:57], s[54:55], s[56:57]             // in0 && in1
v_mul_lo_u32 v9, v9, s[sgprStrideD1J]              // coord1 element offset =  coord1 * StrideD
_v_add_lshl_u32 v9, v9, v10, 0x0                   // scale to BPE
v_cndmask_b32 v9, -1, v9, s[56:57]                 // clip if OOB. offset
v_lshrrev_b32 v17, 8, v26                          // vGWTmp = src >> 8
buffer_store_byte_d16_hi v17, v9, s[sgprSrdD:sgprSrdD+3], 0, offen, offset:0 // store D
_v_add_u32 v11, v5, 4                              // coord1 += nColPerLoad
_v_add_u32 v10, v4, 12                             // coord0 += element index of load vector
_v_add_u32 v9, v6, 4                               // offset coord1 += nColPerLoad
v_cmp_lt_u32 s[54:55], v10, s[sgprSizeI]           // coord0 < size0
v_cmp_lt_u32 s[56:57], v11, s[sgprSizeJ]           // coord1 < size1
s_and_b64 s[56:57], s[54:55], s[56:57]             // in0 && in1
v_mul_lo_u32 v9, v9, s[sgprStrideD1J]              // coord1 element offset =  coord1 * StrideD
_v_add_lshl_u32 v9, v9, v10, 0x0                   // scale to BPE
v_cndmask_b32 v9, -1, v9, s[56:57]                 // clip if OOB. offset
buffer_store_byte v27, v9, s[sgprSrdD:sgprSrdD+3], 0, offen, offset:0 // store D
_v_add_u32 v11, v5, 4                              // coord1 += nColPerLoad
_v_add_u32 v10, v4, 13                             // coord0 += element index of load vector
_v_add_u32 v9, v6, 4                               // offset coord1 += nColPerLoad
v_cmp_lt_u32 s[54:55], v10, s[sgprSizeI]           // coord0 < size0
v_cmp_lt_u32 s[56:57], v11, s[sgprSizeJ]           // coord1 < size1
s_and_b64 s[56:57], s[54:55], s[56:57]             // in0 && in1
v_mul_lo_u32 v9, v9, s[sgprStrideD1J]              // coord1 element offset =  coord1 * StrideD
_v_add_lshl_u32 v9, v9, v10, 0x0                   // scale to BPE
v_cndmask_b32 v9, -1, v9, s[56:57]                 // clip if OOB. offset
v_lshrrev_b32 v17, 8, v27                          // vGWTmp = src >> 8
buffer_store_byte v17, v9, s[sgprSrdD:sgprSrdD+3], 0, offen, offset:0 // store D
_v_add_u32 v11, v5, 4                              // coord1 += nColPerLoad
_v_add_u32 v10, v4, 14                             // coord0 += element index of load vector
_v_add_u32 v9, v6, 4                               // offset coord1 += nColPerLoad
v_cmp_lt_u32 s[54:55], v10, s[sgprSizeI]           // coord0 < size0
v_cmp_lt_u32 s[56:57], v11, s[sgprSizeJ]           // coord1 < size1
s_and_b64 s[56:57], s[54:55], s[56:57]             // in0 && in1
v_mul_lo_u32 v9, v9, s[sgprStrideD1J]              // coord1 element offset =  coord1 * StrideD
_v_add_lshl_u32 v9, v9, v10, 0x0                   // scale to BPE
v_cndmask_b32 v9, -1, v9, s[56:57]                 // clip if OOB. offset
buffer_store_byte_d16_hi v27, v9, s[sgprSrdD:sgprSrdD+3], 0, offen, offset:0 // store D
_v_add_u32 v11, v5, 4                              // coord1 += nColPerLoad
_v_add_u32 v10, v4, 15                             // coord0 += element index of load vector
_v_add_u32 v9, v6, 4                               // offset coord1 += nColPerLoad
v_cmp_lt_u32 s[54:55], v10, s[sgprSizeI]           // coord0 < size0
v_cmp_lt_u32 s[56:57], v11, s[sgprSizeJ]           // coord1 < size1
s_and_b64 s[56:57], s[54:55], s[56:57]             // in0 && in1
v_mul_lo_u32 v9, v9, s[sgprStrideD1J]              // coord1 element offset =  coord1 * StrideD
_v_add_lshl_u32 v9, v9, v10, 0x0                   // scale to BPE
v_cndmask_b32 v9, -1, v9, s[56:57]                 // clip if OOB. offset
v_lshrrev_b32 v17, 8, v27                          // vGWTmp = src >> 8
buffer_store_byte_d16_hi v17, v9, s[sgprSrdD:sgprSrdD+3], 0, offen, offset:0 // store D

s_barrier //wait all lds read finished
s_nop 0                                            // 1 wait state required when next inst writes vgprs held by previous dwordx4 store inst
s_branch label_GW_End_124                          // jump to end
GW_Beta_125:
s_and_b32 s54, 255, s[sgprSizeI]                   // s54 = s[sgprSizeI] % 256
s_add_u32 s55, -0x1, s[sgprNumWorkGroups0]         // 
s_cmp_ge_u32 s[sgprWorkGroup0], s55                // wg0 >= nwg0-1 ?
s_cselect_b32 s54, s54, 0                          // set rMT0
s_cmpk_gt_u32 s54, 0x0                             // rMT0 > 0
s_cbranch_scc1 GW_B1_E1_123                        // jump if edges required
s_and_b32 s54, 255, s[sgprSizeJ]                   // s54 = s[sgprSizeJ] % 256
s_add_u32 s55, -0x1, s[sgprNumWorkGroups1]         // 
s_cmp_ge_u32 s[sgprWorkGroup1], s55                // wg1 >= nwg1-1
s_cselect_b32 s54, s54, 0                          // set rMT1
s_cmpk_gt_u32 s54, 0x0                             // rMT1 > 0
s_cbranch_scc1 GW_B1_E1_123                        // jump if edges required
GW_B1_E0_120:

/* edge=0, allocate 2 sgpr. perBatchTmpS=2 perBatchMaskS=0 perElementMaskS=0 elementsPerBatch=8 */
/* optSingleColVgpr=1 optSharedColVgpr=0 optSGPRUsage=BufferLoad_Mask optSrdIncForRow=1 */

/******************************************/
/* Global Write Alpha Beta Batch #0 (d1,d0,vc1,vc0) = */
/*    (0,0,0,0:vw4); (0,1,0,0:vw4); (0,2,0,0:vw4); (0,3,0,0:vw4); (0,4,0,0:vw4); (0,5,0,0:vw4); (0,6,0,0:vw4); (0,7,0,0:vw4) */
/******************************************/

/* calc coords, apply mask, and issue loads (if necessary) */
/* (d1,vc1,d0,vc0)=(0,0,0,0) */
_v_add_lshl_u32 v17, v2, v0, 0x0                   // optSingleColVgpr scaleToBpe: sharedAddrVgpr <- cinRowPtr + coord0, scaled by BPE. BSHERE:coord0=0, coord0Vgpr=0
_buffer_load_b32 v18, v17, s[sgprSrdC:sgprSrdC+3], 0, offen offset:0 // load C for beta calc
/* (d1,vc1,d0,vc0)=(0,0,1,0) */
_buffer_load_b32 v19, v17, s[sgprSrdC:sgprSrdC+3], 0, offen offset:8 // load C for beta calc
/* (d1,vc1,d0,vc0)=(0,0,2,0) */
_buffer_load_b32 v28, v17, s[sgprSrdC:sgprSrdC+3], 0, offen offset:16 // load C for beta calc
/* (d1,vc1,d0,vc0)=(0,0,3,0) */
_buffer_load_b32 v29, v17, s[sgprSrdC:sgprSrdC+3], 0, offen offset:24 // load C for beta calc
/* (d1,vc1,d0,vc0)=(0,0,4,0) */
_buffer_load_b32 v30, v17, s[sgprSrdC:sgprSrdC+3], 0, offen offset:128 // load C for beta calc
/* (d1,vc1,d0,vc0)=(0,0,5,0) */
_buffer_load_b32 v31, v17, s[sgprSrdC:sgprSrdC+3], 0, offen offset:136 // load C for beta calc
/* (d1,vc1,d0,vc0)=(0,0,6,0) */
_buffer_load_b32 v48, v17, s[sgprSrdC:sgprSrdC+3], 0, offen offset:144 // load C for beta calc
/* (d1,vc1,d0,vc0)=(0,0,7,0) */
_buffer_load_b32 v49, v17, s[sgprSrdC:sgprSrdC+3], 0, offen offset:152 // load C for beta calc
_v_add_lshl_u32 v9, v3, v0, 0x0                    // optSingleColVgpr scaleToBpe: sharedAddrVgpr <- cinRowPtr + coord0, scaled by BPE. BSHERE:coord0=0, coord0Vgpr=0
v_accvgpr_read_b32 v[vgprValuC+20], acc0 // copy acc to vreg[0]
v_accvgpr_read_b32 v[vgprValuC+21], acc1 // copy acc to vreg[1]
v_accvgpr_read_b32 v[vgprValuC+22], acc2 // copy acc to vreg[2]
v_accvgpr_read_b32 v[vgprValuC+23], acc3 // copy acc to vreg[3]
v_accvgpr_read_b32 v[vgprValuC+24], acc4 // copy acc to vreg[4]
v_accvgpr_read_b32 v[vgprValuC+25], acc5 // copy acc to vreg[5]
v_accvgpr_read_b32 v[vgprValuC+26], acc6 // copy acc to vreg[6]
v_accvgpr_read_b32 v[vgprValuC+27], acc7 // copy acc to vreg[7]
v_accvgpr_read_b32 v[vgprValuC+32], acc8 // copy acc to vreg[8]
v_accvgpr_read_b32 v[vgprValuC+33], acc9 // copy acc to vreg[9]
v_accvgpr_read_b32 v[vgprValuC+34], acc10 // copy acc to vreg[10]
v_accvgpr_read_b32 v[vgprValuC+35], acc11 // copy acc to vreg[11]
v_accvgpr_read_b32 v[vgprValuC+36], acc12 // copy acc to vreg[12]
v_accvgpr_read_b32 v[vgprValuC+37], acc13 // copy acc to vreg[13]
v_accvgpr_read_b32 v[vgprValuC+38], acc14 // copy acc to vreg[14]
v_accvgpr_read_b32 v[vgprValuC+39], acc15 // copy acc to vreg[15]
v_accvgpr_read_b32 v[vgprValuC+40], acc16 // copy acc to vreg[16]
v_accvgpr_read_b32 v[vgprValuC+41], acc17 // copy acc to vreg[17]
v_accvgpr_read_b32 v[vgprValuC+42], acc18 // copy acc to vreg[18]
v_accvgpr_read_b32 v[vgprValuC+43], acc19 // copy acc to vreg[19]
v_accvgpr_read_b32 v[vgprValuC+44], acc20 // copy acc to vreg[20]
v_accvgpr_read_b32 v[vgprValuC+45], acc21 // copy acc to vreg[21]
v_accvgpr_read_b32 v[vgprValuC+46], acc22 // copy acc to vreg[22]
v_accvgpr_read_b32 v[vgprValuC+47], acc23 // copy acc to vreg[23]
v_accvgpr_read_b32 v[vgprValuC+52], acc24 // copy acc to vreg[24]
v_accvgpr_read_b32 v[vgprValuC+53], acc25 // copy acc to vreg[25]
v_accvgpr_read_b32 v[vgprValuC+54], acc26 // copy acc to vreg[26]
v_accvgpr_read_b32 v[vgprValuC+55], acc27 // copy acc to vreg[27]
v_accvgpr_read_b32 v[vgprValuC+56], acc28 // copy acc to vreg[28]
v_accvgpr_read_b32 v[vgprValuC+57], acc29 // copy acc to vreg[29]
v_accvgpr_read_b32 v[vgprValuC+58], acc30 // copy acc to vreg[30]
v_accvgpr_read_b32 v[vgprValuC+59], acc31 // copy acc to vreg[31]
s_nop 1                                            // 2 wait states required before reading vgpr

/* rC *= alpha batchElements=[(0, 0, 0, 0), (0, 1, 0, 0), (0, 2, 0, 0), (0, 3, 0, 0), (0, 4, 0, 0), (0, 5, 0, 0), (0, 6, 0, 0), (0, 7, 0, 0)] */
v_mul_f32 v[vgprValuC+20], s[sgprAlpha], v[vgprValuC+20] // *= alpha
v_mul_f32 v[vgprValuC+21], s[sgprAlpha], v[vgprValuC+21] // *= alpha
	;; [unrolled: 1-line block ×32, first 2 shown]

/* apply mask, calc new C and issue writes */
v_mov_b32 v16, 0x207                               // flag for Nan and +/- inf
v_mov_b32 v14, 0x43700000                          // save 240.0f as max for clipping
v_mov_b32 v15, 0xC3700000                          // save -240.0f as min for clipping

s_waitcnt vmcnt(7)                                 // wait C (interleaved) 7 = 8 - 0 + 0 - 1
V_cvt_pk_f32_fp8 v[12:13], v18    // convert two f8 in lo_16 to f32
_v_mac_f32 v[vgprValuC+20], v12, s[sgprBeta]       // finalSum = sum*alpha + C*beta
_v_mac_f32 v[vgprValuC+21], v13, s[sgprBeta]       // finalSum = sum*alpha + C*beta
V_cvt_pk_f32_fp8 v[12:13], v18  src0_sel:WORD_1  // convert two f8 in hi_16 to f32
_v_mac_f32 v[vgprValuC+22], v12, s[sgprBeta]       // finalSum = sum*alpha + C*beta
_v_mac_f32 v[vgprValuC+23], v13, s[sgprBeta]       // finalSum = sum*alpha + C*beta
v_cmp_class_f32 s[54:55], v[vgprValuC+20], v16     // check NaN and +/-INF
v_med3_f32 v12, v[vgprValuC+20], v14, v15          // Clipping f32 value if exceeds the limit
v_cndmask_b32 v12, v12, v[vgprValuC+20], s[54:55]  // 
v_cmp_class_f32 s[54:55], v[vgprValuC+21], v16     // check NaN and +/-INF
v_med3_f32 v13, v[vgprValuC+21], v14, v15          // Clipping f32 value if exceeds the limit
v_cndmask_b32 v13, v13, v[vgprValuC+21], s[54:55]  // 
v_cvt_pk_fp8_f32  v20, v12, v13 op_sel:[0,0,0]     // convert two f32 accumulated values to fp8 and save it to lo_16[0:15]
v_cmp_class_f32 s[54:55], v[vgprValuC+22], v16     // check NaN and +/-INF
v_med3_f32 v12, v[vgprValuC+22], v14, v15          // Clipping f32 value if exceeds the limit
v_cndmask_b32 v12, v12, v[vgprValuC+22], s[54:55]  // 
v_cmp_class_f32 s[54:55], v[vgprValuC+23], v16     // check NaN and +/-INF
v_med3_f32 v13, v[vgprValuC+23], v14, v15          // Clipping f32 value if exceeds the limit
v_cndmask_b32 v13, v13, v[vgprValuC+23], s[54:55]  // 
v_cvt_pk_fp8_f32  v20, v12, v13 op_sel:[0,0,1]     // convert two f32 accumulated values to fp8 and save it to hi_16[16:31]
_ds_store_b32 v7, v20, offset:0                    // storeRemap lw

s_waitcnt vmcnt(6)                                 // wait C (interleaved) 6 = 8 - 1 + 0 - 1
V_cvt_pk_f32_fp8 v[12:13], v19    // convert two f8 in lo_16 to f32
_v_mac_f32 v[vgprValuC+24], v12, s[sgprBeta]       // finalSum = sum*alpha + C*beta
_v_mac_f32 v[vgprValuC+25], v13, s[sgprBeta]       // finalSum = sum*alpha + C*beta
V_cvt_pk_f32_fp8 v[12:13], v19  src0_sel:WORD_1  // convert two f8 in hi_16 to f32
_v_mac_f32 v[vgprValuC+26], v12, s[sgprBeta]       // finalSum = sum*alpha + C*beta
_v_mac_f32 v[vgprValuC+27], v13, s[sgprBeta]       // finalSum = sum*alpha + C*beta
v_cmp_class_f32 s[54:55], v[vgprValuC+24], v16     // check NaN and +/-INF
v_med3_f32 v12, v[vgprValuC+24], v14, v15          // Clipping f32 value if exceeds the limit
v_cndmask_b32 v12, v12, v[vgprValuC+24], s[54:55]  // 
v_cmp_class_f32 s[54:55], v[vgprValuC+25], v16     // check NaN and +/-INF
v_med3_f32 v13, v[vgprValuC+25], v14, v15          // Clipping f32 value if exceeds the limit
v_cndmask_b32 v13, v13, v[vgprValuC+25], s[54:55]  // 
v_cvt_pk_fp8_f32  v24, v12, v13 op_sel:[0,0,0]     // convert two f32 accumulated values to fp8 and save it to lo_16[0:15]
v_cmp_class_f32 s[54:55], v[vgprValuC+26], v16     // check NaN and +/-INF
v_med3_f32 v12, v[vgprValuC+26], v14, v15          // Clipping f32 value if exceeds the limit
v_cndmask_b32 v12, v12, v[vgprValuC+26], s[54:55]  // 
v_cmp_class_f32 s[54:55], v[vgprValuC+27], v16     // check NaN and +/-INF
v_med3_f32 v13, v[vgprValuC+27], v14, v15          // Clipping f32 value if exceeds the limit
v_cndmask_b32 v13, v13, v[vgprValuC+27], s[54:55]  // 
v_cvt_pk_fp8_f32  v24, v12, v13 op_sel:[0,0,1]     // convert two f32 accumulated values to fp8 and save it to hi_16[16:31]
_ds_store_b32 v7, v24, offset:8                    // storeRemap lw

s_waitcnt vmcnt(5)                                 // wait C (interleaved) 5 = 8 - 2 + 0 - 1
V_cvt_pk_f32_fp8 v[12:13], v28    // convert two f8 in lo_16 to f32
_v_mac_f32 v[vgprValuC+32], v12, s[sgprBeta]       // finalSum = sum*alpha + C*beta
_v_mac_f32 v[vgprValuC+33], v13, s[sgprBeta]       // finalSum = sum*alpha + C*beta
V_cvt_pk_f32_fp8 v[12:13], v28  src0_sel:WORD_1  // convert two f8 in hi_16 to f32
_v_mac_f32 v[vgprValuC+34], v12, s[sgprBeta]       // finalSum = sum*alpha + C*beta
_v_mac_f32 v[vgprValuC+35], v13, s[sgprBeta]       // finalSum = sum*alpha + C*beta
v_cmp_class_f32 s[54:55], v[vgprValuC+32], v16     // check NaN and +/-INF
v_med3_f32 v12, v[vgprValuC+32], v14, v15          // Clipping f32 value if exceeds the limit
v_cndmask_b32 v12, v12, v[vgprValuC+32], s[54:55]  // 
v_cmp_class_f32 s[54:55], v[vgprValuC+33], v16     // check NaN and +/-INF
v_med3_f32 v13, v[vgprValuC+33], v14, v15          // Clipping f32 value if exceeds the limit
v_cndmask_b32 v13, v13, v[vgprValuC+33], s[54:55]  // 
v_cvt_pk_fp8_f32  v32, v12, v13 op_sel:[0,0,0]     // convert two f32 accumulated values to fp8 and save it to lo_16[0:15]
v_cmp_class_f32 s[54:55], v[vgprValuC+34], v16     // check NaN and +/-INF
v_med3_f32 v12, v[vgprValuC+34], v14, v15          // Clipping f32 value if exceeds the limit
v_cndmask_b32 v12, v12, v[vgprValuC+34], s[54:55]  // 
v_cmp_class_f32 s[54:55], v[vgprValuC+35], v16     // check NaN and +/-INF
v_med3_f32 v13, v[vgprValuC+35], v14, v15          // Clipping f32 value if exceeds the limit
v_cndmask_b32 v13, v13, v[vgprValuC+35], s[54:55]  // 
v_cvt_pk_fp8_f32  v32, v12, v13 op_sel:[0,0,1]     // convert two f32 accumulated values to fp8 and save it to hi_16[16:31]
_ds_store_b32 v7, v32, offset:16                   // storeRemap lw

s_waitcnt vmcnt(4)                                 // wait C (interleaved) 4 = 8 - 3 + 0 - 1
V_cvt_pk_f32_fp8 v[12:13], v29    // convert two f8 in lo_16 to f32
_v_mac_f32 v[vgprValuC+36], v12, s[sgprBeta]       // finalSum = sum*alpha + C*beta
_v_mac_f32 v[vgprValuC+37], v13, s[sgprBeta]       // finalSum = sum*alpha + C*beta
V_cvt_pk_f32_fp8 v[12:13], v29  src0_sel:WORD_1  // convert two f8 in hi_16 to f32
_v_mac_f32 v[vgprValuC+38], v12, s[sgprBeta]       // finalSum = sum*alpha + C*beta
_v_mac_f32 v[vgprValuC+39], v13, s[sgprBeta]       // finalSum = sum*alpha + C*beta
v_cmp_class_f32 s[54:55], v[vgprValuC+36], v16     // check NaN and +/-INF
v_med3_f32 v12, v[vgprValuC+36], v14, v15          // Clipping f32 value if exceeds the limit
v_cndmask_b32 v12, v12, v[vgprValuC+36], s[54:55]  // 
v_cmp_class_f32 s[54:55], v[vgprValuC+37], v16     // check NaN and +/-INF
v_med3_f32 v13, v[vgprValuC+37], v14, v15          // Clipping f32 value if exceeds the limit
v_cndmask_b32 v13, v13, v[vgprValuC+37], s[54:55]  // 
v_cvt_pk_fp8_f32  v36, v12, v13 op_sel:[0,0,0]     // convert two f32 accumulated values to fp8 and save it to lo_16[0:15]
v_cmp_class_f32 s[54:55], v[vgprValuC+38], v16     // check NaN and +/-INF
v_med3_f32 v12, v[vgprValuC+38], v14, v15          // Clipping f32 value if exceeds the limit
v_cndmask_b32 v12, v12, v[vgprValuC+38], s[54:55]  // 
v_cmp_class_f32 s[54:55], v[vgprValuC+39], v16     // check NaN and +/-INF
v_med3_f32 v13, v[vgprValuC+39], v14, v15          // Clipping f32 value if exceeds the limit
v_cndmask_b32 v13, v13, v[vgprValuC+39], s[54:55]  // 
v_cvt_pk_fp8_f32  v36, v12, v13 op_sel:[0,0,1]     // convert two f32 accumulated values to fp8 and save it to hi_16[16:31]
_ds_store_b32 v7, v36, offset:24                   // storeRemap lw

s_waitcnt vmcnt(3)                                 // wait C (interleaved) 3 = 8 - 4 + 0 - 1
V_cvt_pk_f32_fp8 v[12:13], v30    // convert two f8 in lo_16 to f32
_v_mac_f32 v[vgprValuC+40], v12, s[sgprBeta]       // finalSum = sum*alpha + C*beta
_v_mac_f32 v[vgprValuC+41], v13, s[sgprBeta]       // finalSum = sum*alpha + C*beta
V_cvt_pk_f32_fp8 v[12:13], v30  src0_sel:WORD_1  // convert two f8 in hi_16 to f32
_v_mac_f32 v[vgprValuC+42], v12, s[sgprBeta]       // finalSum = sum*alpha + C*beta
_v_mac_f32 v[vgprValuC+43], v13, s[sgprBeta]       // finalSum = sum*alpha + C*beta
v_cmp_class_f32 s[54:55], v[vgprValuC+40], v16     // check NaN and +/-INF
v_med3_f32 v12, v[vgprValuC+40], v14, v15          // Clipping f32 value if exceeds the limit
v_cndmask_b32 v12, v12, v[vgprValuC+40], s[54:55]  // 
v_cmp_class_f32 s[54:55], v[vgprValuC+41], v16     // check NaN and +/-INF
v_med3_f32 v13, v[vgprValuC+41], v14, v15          // Clipping f32 value if exceeds the limit
v_cndmask_b32 v13, v13, v[vgprValuC+41], s[54:55]  // 
v_cvt_pk_fp8_f32  v40, v12, v13 op_sel:[0,0,0]     // convert two f32 accumulated values to fp8 and save it to lo_16[0:15]
v_cmp_class_f32 s[54:55], v[vgprValuC+42], v16     // check NaN and +/-INF
v_med3_f32 v12, v[vgprValuC+42], v14, v15          // Clipping f32 value if exceeds the limit
v_cndmask_b32 v12, v12, v[vgprValuC+42], s[54:55]  // 
v_cmp_class_f32 s[54:55], v[vgprValuC+43], v16     // check NaN and +/-INF
v_med3_f32 v13, v[vgprValuC+43], v14, v15          // Clipping f32 value if exceeds the limit
v_cndmask_b32 v13, v13, v[vgprValuC+43], s[54:55]  // 
v_cvt_pk_fp8_f32  v40, v12, v13 op_sel:[0,0,1]     // convert two f32 accumulated values to fp8 and save it to hi_16[16:31]
_ds_store_b32 v7, v40, offset:128                  // storeRemap lw

s_waitcnt vmcnt(2)                                 // wait C (interleaved) 2 = 8 - 5 + 0 - 1
V_cvt_pk_f32_fp8 v[12:13], v31    // convert two f8 in lo_16 to f32
_v_mac_f32 v[vgprValuC+44], v12, s[sgprBeta]       // finalSum = sum*alpha + C*beta
_v_mac_f32 v[vgprValuC+45], v13, s[sgprBeta]       // finalSum = sum*alpha + C*beta
V_cvt_pk_f32_fp8 v[12:13], v31  src0_sel:WORD_1  // convert two f8 in hi_16 to f32
_v_mac_f32 v[vgprValuC+46], v12, s[sgprBeta]       // finalSum = sum*alpha + C*beta
_v_mac_f32 v[vgprValuC+47], v13, s[sgprBeta]       // finalSum = sum*alpha + C*beta
v_cmp_class_f32 s[54:55], v[vgprValuC+44], v16     // check NaN and +/-INF
v_med3_f32 v12, v[vgprValuC+44], v14, v15          // Clipping f32 value if exceeds the limit
v_cndmask_b32 v12, v12, v[vgprValuC+44], s[54:55]  // 
v_cmp_class_f32 s[54:55], v[vgprValuC+45], v16     // check NaN and +/-INF
v_med3_f32 v13, v[vgprValuC+45], v14, v15          // Clipping f32 value if exceeds the limit
v_cndmask_b32 v13, v13, v[vgprValuC+45], s[54:55]  // 
v_cvt_pk_fp8_f32  v44, v12, v13 op_sel:[0,0,0]     // convert two f32 accumulated values to fp8 and save it to lo_16[0:15]
v_cmp_class_f32 s[54:55], v[vgprValuC+46], v16     // check NaN and +/-INF
v_med3_f32 v12, v[vgprValuC+46], v14, v15          // Clipping f32 value if exceeds the limit
v_cndmask_b32 v12, v12, v[vgprValuC+46], s[54:55]  // 
v_cmp_class_f32 s[54:55], v[vgprValuC+47], v16     // check NaN and +/-INF
v_med3_f32 v13, v[vgprValuC+47], v14, v15          // Clipping f32 value if exceeds the limit
v_cndmask_b32 v13, v13, v[vgprValuC+47], s[54:55]  // 
v_cvt_pk_fp8_f32  v44, v12, v13 op_sel:[0,0,1]     // convert two f32 accumulated values to fp8 and save it to hi_16[16:31]
_ds_store_b32 v7, v44, offset:136                  // storeRemap lw
	;; [unrolled: 23-line block ×4, first 2 shown]

/* Handle local read and global write */
s_waitcnt lgkmcnt(0)                               // wait for LDS write
s_barrier //wait all lds write finished

_ds_load_b128 v[20:23], v8, offset:0               // storeRemap lr
_ds_load_b128 v[24:27], v8, offset:1088            // storeRemap lr

v_mov_b32 v18, v6                                  // coord1
v_mul_lo_u32 v18, v18, s[sgprStrideD1J]            // coord1 offset =  coord1 * StrideD
_v_add_lshl_u32 v18, v18, v4, 0x0                  // global write D address
s_waitcnt lgkmcnt(1)                               // wait for LDS read
_buffer_store_b128 v[20:23], v18, s[sgprSrdD:sgprSrdD+3], 0, offen, offset:0 // store D
_v_add_u32 v18, v6, 4                              // coord1 += nColPerLoad
v_mul_lo_u32 v18, v18, s[sgprStrideD1J]            // coord1 offset =  coord1 * StrideD
_v_add_lshl_u32 v18, v18, v4, 0x0                  // global write D address
s_waitcnt lgkmcnt(0)                               // wait for LDS read
_buffer_store_b128 v[24:27], v18, s[sgprSrdD:sgprSrdD+3], 0, offen, offset:0 // store D

s_barrier //wait all lds read finished
s_nop 0                                            // 1 wait state required when next inst writes vgprs held by previous dwordx4 store inst
/* optSingleColVgpr=1 optSharedColVgpr=0 optSGPRUsage=BufferLoad_Mask optSrdIncForRow=1 */

/******************************************/
/* Global Write Alpha Beta Batch #1 (d1,d0,vc1,vc0) = */
/*    (1,0,0,0:vw4); (1,1,0,0:vw4); (1,2,0,0:vw4); (1,3,0,0:vw4); (1,4,0,0:vw4); (1,5,0,0:vw4); (1,6,0,0:vw4); (1,7,0,0:vw4) */
/******************************************/

/* calc coords, apply mask, and issue loads (if necessary) */
/* (d1,vc1,d0,vc0)=(1,0,0,0) */
s_mul_i32 s54, s[sgprStrideC1J], 32                // scale StrideC *= numRows(32) * bpe
s_add_u32  s[sgprSrdC+0], s[sgprSrdC+0], s54       // incToNextRow: gra SRD += inc(lower)
s_addc_u32  s[sgprSrdC+1], s[sgprSrdC+1], 0        // incToNextRow: gra SRD += inc(upper)
_buffer_load_b32 v18, v17, s[sgprSrdC:sgprSrdC+3], 0, offen offset:0 // load C for beta calc
/* (d1,vc1,d0,vc0)=(1,0,1,0) */
_buffer_load_b32 v19, v17, s[sgprSrdC:sgprSrdC+3], 0, offen offset:8 // load C for beta calc
/* (d1,vc1,d0,vc0)=(1,0,2,0) */
	;; [unrolled: 2-line block ×7, first 2 shown]
_buffer_load_b32 v49, v17, s[sgprSrdC:sgprSrdC+3], 0, offen offset:152 // load C for beta calc
v_accvgpr_read_b32 v[vgprValuC+20], acc32 // copy acc to vreg[32]
v_accvgpr_read_b32 v[vgprValuC+21], acc33 // copy acc to vreg[33]
v_accvgpr_read_b32 v[vgprValuC+22], acc34 // copy acc to vreg[34]
v_accvgpr_read_b32 v[vgprValuC+23], acc35 // copy acc to vreg[35]
v_accvgpr_read_b32 v[vgprValuC+24], acc36 // copy acc to vreg[36]
v_accvgpr_read_b32 v[vgprValuC+25], acc37 // copy acc to vreg[37]
v_accvgpr_read_b32 v[vgprValuC+26], acc38 // copy acc to vreg[38]
v_accvgpr_read_b32 v[vgprValuC+27], acc39 // copy acc to vreg[39]
v_accvgpr_read_b32 v[vgprValuC+32], acc40 // copy acc to vreg[40]
v_accvgpr_read_b32 v[vgprValuC+33], acc41 // copy acc to vreg[41]
v_accvgpr_read_b32 v[vgprValuC+34], acc42 // copy acc to vreg[42]
v_accvgpr_read_b32 v[vgprValuC+35], acc43 // copy acc to vreg[43]
v_accvgpr_read_b32 v[vgprValuC+36], acc44 // copy acc to vreg[44]
v_accvgpr_read_b32 v[vgprValuC+37], acc45 // copy acc to vreg[45]
v_accvgpr_read_b32 v[vgprValuC+38], acc46 // copy acc to vreg[46]
v_accvgpr_read_b32 v[vgprValuC+39], acc47 // copy acc to vreg[47]
v_accvgpr_read_b32 v[vgprValuC+40], acc48 // copy acc to vreg[48]
v_accvgpr_read_b32 v[vgprValuC+41], acc49 // copy acc to vreg[49]
v_accvgpr_read_b32 v[vgprValuC+42], acc50 // copy acc to vreg[50]
v_accvgpr_read_b32 v[vgprValuC+43], acc51 // copy acc to vreg[51]
v_accvgpr_read_b32 v[vgprValuC+44], acc52 // copy acc to vreg[52]
v_accvgpr_read_b32 v[vgprValuC+45], acc53 // copy acc to vreg[53]
v_accvgpr_read_b32 v[vgprValuC+46], acc54 // copy acc to vreg[54]
v_accvgpr_read_b32 v[vgprValuC+47], acc55 // copy acc to vreg[55]
v_accvgpr_read_b32 v[vgprValuC+52], acc56 // copy acc to vreg[56]
v_accvgpr_read_b32 v[vgprValuC+53], acc57 // copy acc to vreg[57]
v_accvgpr_read_b32 v[vgprValuC+54], acc58 // copy acc to vreg[58]
v_accvgpr_read_b32 v[vgprValuC+55], acc59 // copy acc to vreg[59]
v_accvgpr_read_b32 v[vgprValuC+56], acc60 // copy acc to vreg[60]
v_accvgpr_read_b32 v[vgprValuC+57], acc61 // copy acc to vreg[61]
v_accvgpr_read_b32 v[vgprValuC+58], acc62 // copy acc to vreg[62]
v_accvgpr_read_b32 v[vgprValuC+59], acc63 // copy acc to vreg[63]
s_nop 1                                            // 2 wait states required before reading vgpr

/* rC *= alpha batchElements=[(1, 0, 0, 0), (1, 1, 0, 0), (1, 2, 0, 0), (1, 3, 0, 0), (1, 4, 0, 0), (1, 5, 0, 0), (1, 6, 0, 0), (1, 7, 0, 0)] */
v_mul_f32 v[vgprValuC+20], s[sgprAlpha], v[vgprValuC+20] // *= alpha
v_mul_f32 v[vgprValuC+21], s[sgprAlpha], v[vgprValuC+21] // *= alpha
	;; [unrolled: 1-line block ×32, first 2 shown]

/* apply mask, calc new C and issue writes */
v_mov_b32 v16, 0x207                               // flag for Nan and +/- inf
v_mov_b32 v14, 0x43700000                          // save 240.0f as max for clipping
v_mov_b32 v15, 0xC3700000                          // save -240.0f as min for clipping

/* StoreRemap: shift coord1 address */
s_mul_i32 s54, s[sgprStrideD1J], 32                // scale StrideD *= numRows(32) * bpe
s_add_u32  s[sgprSrdD+0], s[sgprSrdD+0], s54       // incToNextRow: gra SRD += inc(lower)
s_addc_u32  s[sgprSrdD+1], s[sgprSrdD+1], 0        // incToNextRow: gra SRD += inc(upper)
v_mov_b32 v10, 32                                  // set shift rows
_v_add_u32 v5, v5, v10                             // shift storeRemap coord1

s_waitcnt vmcnt(7)                                 // wait C (interleaved) 7 = 8 - 0 + 0 - 1
V_cvt_pk_f32_fp8 v[12:13], v18    // convert two f8 in lo_16 to f32
_v_mac_f32 v[vgprValuC+20], v12, s[sgprBeta]       // finalSum = sum*alpha + C*beta
_v_mac_f32 v[vgprValuC+21], v13, s[sgprBeta]       // finalSum = sum*alpha + C*beta
V_cvt_pk_f32_fp8 v[12:13], v18  src0_sel:WORD_1  // convert two f8 in hi_16 to f32
_v_mac_f32 v[vgprValuC+22], v12, s[sgprBeta]       // finalSum = sum*alpha + C*beta
_v_mac_f32 v[vgprValuC+23], v13, s[sgprBeta]       // finalSum = sum*alpha + C*beta
v_cmp_class_f32 s[54:55], v[vgprValuC+20], v16     // check NaN and +/-INF
v_med3_f32 v12, v[vgprValuC+20], v14, v15          // Clipping f32 value if exceeds the limit
v_cndmask_b32 v12, v12, v[vgprValuC+20], s[54:55]  // 
v_cmp_class_f32 s[54:55], v[vgprValuC+21], v16     // check NaN and +/-INF
v_med3_f32 v13, v[vgprValuC+21], v14, v15          // Clipping f32 value if exceeds the limit
v_cndmask_b32 v13, v13, v[vgprValuC+21], s[54:55]  // 
v_cvt_pk_fp8_f32  v20, v12, v13 op_sel:[0,0,0]     // convert two f32 accumulated values to fp8 and save it to lo_16[0:15]
v_cmp_class_f32 s[54:55], v[vgprValuC+22], v16     // check NaN and +/-INF
v_med3_f32 v12, v[vgprValuC+22], v14, v15          // Clipping f32 value if exceeds the limit
v_cndmask_b32 v12, v12, v[vgprValuC+22], s[54:55]  // 
v_cmp_class_f32 s[54:55], v[vgprValuC+23], v16     // check NaN and +/-INF
v_med3_f32 v13, v[vgprValuC+23], v14, v15          // Clipping f32 value if exceeds the limit
v_cndmask_b32 v13, v13, v[vgprValuC+23], s[54:55]  // 
v_cvt_pk_fp8_f32  v20, v12, v13 op_sel:[0,0,1]     // convert two f32 accumulated values to fp8 and save it to hi_16[16:31]
_ds_store_b32 v7, v20, offset:0                    // storeRemap lw

s_waitcnt vmcnt(6)                                 // wait C (interleaved) 6 = 8 - 1 + 0 - 1
V_cvt_pk_f32_fp8 v[12:13], v19    // convert two f8 in lo_16 to f32
_v_mac_f32 v[vgprValuC+24], v12, s[sgprBeta]       // finalSum = sum*alpha + C*beta
_v_mac_f32 v[vgprValuC+25], v13, s[sgprBeta]       // finalSum = sum*alpha + C*beta
V_cvt_pk_f32_fp8 v[12:13], v19  src0_sel:WORD_1  // convert two f8 in hi_16 to f32
_v_mac_f32 v[vgprValuC+26], v12, s[sgprBeta]       // finalSum = sum*alpha + C*beta
_v_mac_f32 v[vgprValuC+27], v13, s[sgprBeta]       // finalSum = sum*alpha + C*beta
v_cmp_class_f32 s[54:55], v[vgprValuC+24], v16     // check NaN and +/-INF
v_med3_f32 v12, v[vgprValuC+24], v14, v15          // Clipping f32 value if exceeds the limit
v_cndmask_b32 v12, v12, v[vgprValuC+24], s[54:55]  // 
v_cmp_class_f32 s[54:55], v[vgprValuC+25], v16     // check NaN and +/-INF
v_med3_f32 v13, v[vgprValuC+25], v14, v15          // Clipping f32 value if exceeds the limit
v_cndmask_b32 v13, v13, v[vgprValuC+25], s[54:55]  // 
v_cvt_pk_fp8_f32  v24, v12, v13 op_sel:[0,0,0]     // convert two f32 accumulated values to fp8 and save it to lo_16[0:15]
v_cmp_class_f32 s[54:55], v[vgprValuC+26], v16     // check NaN and +/-INF
v_med3_f32 v12, v[vgprValuC+26], v14, v15          // Clipping f32 value if exceeds the limit
v_cndmask_b32 v12, v12, v[vgprValuC+26], s[54:55]  // 
v_cmp_class_f32 s[54:55], v[vgprValuC+27], v16     // check NaN and +/-INF
v_med3_f32 v13, v[vgprValuC+27], v14, v15          // Clipping f32 value if exceeds the limit
v_cndmask_b32 v13, v13, v[vgprValuC+27], s[54:55]  // 
v_cvt_pk_fp8_f32  v24, v12, v13 op_sel:[0,0,1]     // convert two f32 accumulated values to fp8 and save it to hi_16[16:31]
_ds_store_b32 v7, v24, offset:8                    // storeRemap lw

s_waitcnt vmcnt(5)                                 // wait C (interleaved) 5 = 8 - 2 + 0 - 1
V_cvt_pk_f32_fp8 v[12:13], v28    // convert two f8 in lo_16 to f32
_v_mac_f32 v[vgprValuC+32], v12, s[sgprBeta]       // finalSum = sum*alpha + C*beta
_v_mac_f32 v[vgprValuC+33], v13, s[sgprBeta]       // finalSum = sum*alpha + C*beta
V_cvt_pk_f32_fp8 v[12:13], v28  src0_sel:WORD_1  // convert two f8 in hi_16 to f32
_v_mac_f32 v[vgprValuC+34], v12, s[sgprBeta]       // finalSum = sum*alpha + C*beta
_v_mac_f32 v[vgprValuC+35], v13, s[sgprBeta]       // finalSum = sum*alpha + C*beta
v_cmp_class_f32 s[54:55], v[vgprValuC+32], v16     // check NaN and +/-INF
v_med3_f32 v12, v[vgprValuC+32], v14, v15          // Clipping f32 value if exceeds the limit
v_cndmask_b32 v12, v12, v[vgprValuC+32], s[54:55]  // 
v_cmp_class_f32 s[54:55], v[vgprValuC+33], v16     // check NaN and +/-INF
v_med3_f32 v13, v[vgprValuC+33], v14, v15          // Clipping f32 value if exceeds the limit
v_cndmask_b32 v13, v13, v[vgprValuC+33], s[54:55]  // 
v_cvt_pk_fp8_f32  v32, v12, v13 op_sel:[0,0,0]     // convert two f32 accumulated values to fp8 and save it to lo_16[0:15]
v_cmp_class_f32 s[54:55], v[vgprValuC+34], v16     // check NaN and +/-INF
v_med3_f32 v12, v[vgprValuC+34], v14, v15          // Clipping f32 value if exceeds the limit
v_cndmask_b32 v12, v12, v[vgprValuC+34], s[54:55]  // 
v_cmp_class_f32 s[54:55], v[vgprValuC+35], v16     // check NaN and +/-INF
v_med3_f32 v13, v[vgprValuC+35], v14, v15          // Clipping f32 value if exceeds the limit
v_cndmask_b32 v13, v13, v[vgprValuC+35], s[54:55]  // 
v_cvt_pk_fp8_f32  v32, v12, v13 op_sel:[0,0,1]     // convert two f32 accumulated values to fp8 and save it to hi_16[16:31]
_ds_store_b32 v7, v32, offset:16                   // storeRemap lw

s_waitcnt vmcnt(4)                                 // wait C (interleaved) 4 = 8 - 3 + 0 - 1
V_cvt_pk_f32_fp8 v[12:13], v29    // convert two f8 in lo_16 to f32
_v_mac_f32 v[vgprValuC+36], v12, s[sgprBeta]       // finalSum = sum*alpha + C*beta
_v_mac_f32 v[vgprValuC+37], v13, s[sgprBeta]       // finalSum = sum*alpha + C*beta
V_cvt_pk_f32_fp8 v[12:13], v29  src0_sel:WORD_1  // convert two f8 in hi_16 to f32
_v_mac_f32 v[vgprValuC+38], v12, s[sgprBeta]       // finalSum = sum*alpha + C*beta
_v_mac_f32 v[vgprValuC+39], v13, s[sgprBeta]       // finalSum = sum*alpha + C*beta
v_cmp_class_f32 s[54:55], v[vgprValuC+36], v16     // check NaN and +/-INF
v_med3_f32 v12, v[vgprValuC+36], v14, v15          // Clipping f32 value if exceeds the limit
v_cndmask_b32 v12, v12, v[vgprValuC+36], s[54:55]  // 
v_cmp_class_f32 s[54:55], v[vgprValuC+37], v16     // check NaN and +/-INF
v_med3_f32 v13, v[vgprValuC+37], v14, v15          // Clipping f32 value if exceeds the limit
v_cndmask_b32 v13, v13, v[vgprValuC+37], s[54:55]  // 
v_cvt_pk_fp8_f32  v36, v12, v13 op_sel:[0,0,0]     // convert two f32 accumulated values to fp8 and save it to lo_16[0:15]
v_cmp_class_f32 s[54:55], v[vgprValuC+38], v16     // check NaN and +/-INF
v_med3_f32 v12, v[vgprValuC+38], v14, v15          // Clipping f32 value if exceeds the limit
v_cndmask_b32 v12, v12, v[vgprValuC+38], s[54:55]  // 
v_cmp_class_f32 s[54:55], v[vgprValuC+39], v16     // check NaN and +/-INF
v_med3_f32 v13, v[vgprValuC+39], v14, v15          // Clipping f32 value if exceeds the limit
v_cndmask_b32 v13, v13, v[vgprValuC+39], s[54:55]  // 
v_cvt_pk_fp8_f32  v36, v12, v13 op_sel:[0,0,1]     // convert two f32 accumulated values to fp8 and save it to hi_16[16:31]
_ds_store_b32 v7, v36, offset:24                   // storeRemap lw

s_waitcnt vmcnt(3)                                 // wait C (interleaved) 3 = 8 - 4 + 0 - 1
V_cvt_pk_f32_fp8 v[12:13], v30    // convert two f8 in lo_16 to f32
_v_mac_f32 v[vgprValuC+40], v12, s[sgprBeta]       // finalSum = sum*alpha + C*beta
_v_mac_f32 v[vgprValuC+41], v13, s[sgprBeta]       // finalSum = sum*alpha + C*beta
V_cvt_pk_f32_fp8 v[12:13], v30  src0_sel:WORD_1  // convert two f8 in hi_16 to f32
_v_mac_f32 v[vgprValuC+42], v12, s[sgprBeta]       // finalSum = sum*alpha + C*beta
_v_mac_f32 v[vgprValuC+43], v13, s[sgprBeta]       // finalSum = sum*alpha + C*beta
v_cmp_class_f32 s[54:55], v[vgprValuC+40], v16     // check NaN and +/-INF
v_med3_f32 v12, v[vgprValuC+40], v14, v15          // Clipping f32 value if exceeds the limit
v_cndmask_b32 v12, v12, v[vgprValuC+40], s[54:55]  // 
v_cmp_class_f32 s[54:55], v[vgprValuC+41], v16     // check NaN and +/-INF
v_med3_f32 v13, v[vgprValuC+41], v14, v15          // Clipping f32 value if exceeds the limit
v_cndmask_b32 v13, v13, v[vgprValuC+41], s[54:55]  // 
v_cvt_pk_fp8_f32  v40, v12, v13 op_sel:[0,0,0]     // convert two f32 accumulated values to fp8 and save it to lo_16[0:15]
v_cmp_class_f32 s[54:55], v[vgprValuC+42], v16     // check NaN and +/-INF
v_med3_f32 v12, v[vgprValuC+42], v14, v15          // Clipping f32 value if exceeds the limit
v_cndmask_b32 v12, v12, v[vgprValuC+42], s[54:55]  // 
v_cmp_class_f32 s[54:55], v[vgprValuC+43], v16     // check NaN and +/-INF
v_med3_f32 v13, v[vgprValuC+43], v14, v15          // Clipping f32 value if exceeds the limit
v_cndmask_b32 v13, v13, v[vgprValuC+43], s[54:55]  // 
v_cvt_pk_fp8_f32  v40, v12, v13 op_sel:[0,0,1]     // convert two f32 accumulated values to fp8 and save it to hi_16[16:31]
_ds_store_b32 v7, v40, offset:128                  // storeRemap lw

s_waitcnt vmcnt(2)                                 // wait C (interleaved) 2 = 8 - 5 + 0 - 1
V_cvt_pk_f32_fp8 v[12:13], v31    // convert two f8 in lo_16 to f32
_v_mac_f32 v[vgprValuC+44], v12, s[sgprBeta]       // finalSum = sum*alpha + C*beta
_v_mac_f32 v[vgprValuC+45], v13, s[sgprBeta]       // finalSum = sum*alpha + C*beta
V_cvt_pk_f32_fp8 v[12:13], v31  src0_sel:WORD_1  // convert two f8 in hi_16 to f32
_v_mac_f32 v[vgprValuC+46], v12, s[sgprBeta]       // finalSum = sum*alpha + C*beta
_v_mac_f32 v[vgprValuC+47], v13, s[sgprBeta]       // finalSum = sum*alpha + C*beta
v_cmp_class_f32 s[54:55], v[vgprValuC+44], v16     // check NaN and +/-INF
v_med3_f32 v12, v[vgprValuC+44], v14, v15          // Clipping f32 value if exceeds the limit
v_cndmask_b32 v12, v12, v[vgprValuC+44], s[54:55]  // 
v_cmp_class_f32 s[54:55], v[vgprValuC+45], v16     // check NaN and +/-INF
v_med3_f32 v13, v[vgprValuC+45], v14, v15          // Clipping f32 value if exceeds the limit
v_cndmask_b32 v13, v13, v[vgprValuC+45], s[54:55]  // 
v_cvt_pk_fp8_f32  v44, v12, v13 op_sel:[0,0,0]     // convert two f32 accumulated values to fp8 and save it to lo_16[0:15]
v_cmp_class_f32 s[54:55], v[vgprValuC+46], v16     // check NaN and +/-INF
v_med3_f32 v12, v[vgprValuC+46], v14, v15          // Clipping f32 value if exceeds the limit
v_cndmask_b32 v12, v12, v[vgprValuC+46], s[54:55]  // 
v_cmp_class_f32 s[54:55], v[vgprValuC+47], v16     // check NaN and +/-INF
v_med3_f32 v13, v[vgprValuC+47], v14, v15          // Clipping f32 value if exceeds the limit
v_cndmask_b32 v13, v13, v[vgprValuC+47], s[54:55]  // 
v_cvt_pk_fp8_f32  v44, v12, v13 op_sel:[0,0,1]     // convert two f32 accumulated values to fp8 and save it to hi_16[16:31]
_ds_store_b32 v7, v44, offset:136                  // storeRemap lw
	;; [unrolled: 23-line block ×4, first 2 shown]

/* Handle local read and global write */
s_waitcnt lgkmcnt(0)                               // wait for LDS write
s_barrier //wait all lds write finished

_ds_load_b128 v[20:23], v8, offset:0               // storeRemap lr
_ds_load_b128 v[24:27], v8, offset:1088            // storeRemap lr

v_mov_b32 v18, v6                                  // coord1
v_mul_lo_u32 v18, v18, s[sgprStrideD1J]            // coord1 offset =  coord1 * StrideD
_v_add_lshl_u32 v18, v18, v4, 0x0                  // global write D address
s_waitcnt lgkmcnt(1)                               // wait for LDS read
_buffer_store_b128 v[20:23], v18, s[sgprSrdD:sgprSrdD+3], 0, offen, offset:0 // store D
_v_add_u32 v18, v6, 4                              // coord1 += nColPerLoad
v_mul_lo_u32 v18, v18, s[sgprStrideD1J]            // coord1 offset =  coord1 * StrideD
_v_add_lshl_u32 v18, v18, v4, 0x0                  // global write D address
s_waitcnt lgkmcnt(0)                               // wait for LDS read
_buffer_store_b128 v[24:27], v18, s[sgprSrdD:sgprSrdD+3], 0, offen, offset:0 // store D

s_barrier //wait all lds read finished
s_nop 0                                            // 1 wait state required when next inst writes vgprs held by previous dwordx4 store inst
/* optSingleColVgpr=1 optSharedColVgpr=0 optSGPRUsage=BufferLoad_Mask optSrdIncForRow=1 */

/******************************************/
/* Global Write Alpha Beta Batch #2 (d1,d0,vc1,vc0) = */
/*    (2,0,0,0:vw4); (2,1,0,0:vw4); (2,2,0,0:vw4); (2,3,0,0:vw4); (2,4,0,0:vw4); (2,5,0,0:vw4); (2,6,0,0:vw4); (2,7,0,0:vw4) */
/******************************************/

/* calc coords, apply mask, and issue loads (if necessary) */
/* (d1,vc1,d0,vc0)=(2,0,0,0) */
s_mul_i32 s54, s[sgprStrideC1J], 32                // scale StrideC *= numRows(32) * bpe
s_add_u32  s[sgprSrdC+0], s[sgprSrdC+0], s54       // incToNextRow: gra SRD += inc(lower)
s_addc_u32  s[sgprSrdC+1], s[sgprSrdC+1], 0        // incToNextRow: gra SRD += inc(upper)
_buffer_load_b32 v18, v17, s[sgprSrdC:sgprSrdC+3], 0, offen offset:0 // load C for beta calc
/* (d1,vc1,d0,vc0)=(2,0,1,0) */
_buffer_load_b32 v19, v17, s[sgprSrdC:sgprSrdC+3], 0, offen offset:8 // load C for beta calc
/* (d1,vc1,d0,vc0)=(2,0,2,0) */
	;; [unrolled: 2-line block ×7, first 2 shown]
_buffer_load_b32 v49, v17, s[sgprSrdC:sgprSrdC+3], 0, offen offset:152 // load C for beta calc
v_accvgpr_read_b32 v[vgprValuC+20], acc64 // copy acc to vreg[64]
v_accvgpr_read_b32 v[vgprValuC+21], acc65 // copy acc to vreg[65]
v_accvgpr_read_b32 v[vgprValuC+22], acc66 // copy acc to vreg[66]
v_accvgpr_read_b32 v[vgprValuC+23], acc67 // copy acc to vreg[67]
v_accvgpr_read_b32 v[vgprValuC+24], acc68 // copy acc to vreg[68]
v_accvgpr_read_b32 v[vgprValuC+25], acc69 // copy acc to vreg[69]
v_accvgpr_read_b32 v[vgprValuC+26], acc70 // copy acc to vreg[70]
v_accvgpr_read_b32 v[vgprValuC+27], acc71 // copy acc to vreg[71]
v_accvgpr_read_b32 v[vgprValuC+32], acc72 // copy acc to vreg[72]
v_accvgpr_read_b32 v[vgprValuC+33], acc73 // copy acc to vreg[73]
v_accvgpr_read_b32 v[vgprValuC+34], acc74 // copy acc to vreg[74]
v_accvgpr_read_b32 v[vgprValuC+35], acc75 // copy acc to vreg[75]
v_accvgpr_read_b32 v[vgprValuC+36], acc76 // copy acc to vreg[76]
v_accvgpr_read_b32 v[vgprValuC+37], acc77 // copy acc to vreg[77]
v_accvgpr_read_b32 v[vgprValuC+38], acc78 // copy acc to vreg[78]
v_accvgpr_read_b32 v[vgprValuC+39], acc79 // copy acc to vreg[79]
v_accvgpr_read_b32 v[vgprValuC+40], acc80 // copy acc to vreg[80]
v_accvgpr_read_b32 v[vgprValuC+41], acc81 // copy acc to vreg[81]
v_accvgpr_read_b32 v[vgprValuC+42], acc82 // copy acc to vreg[82]
v_accvgpr_read_b32 v[vgprValuC+43], acc83 // copy acc to vreg[83]
v_accvgpr_read_b32 v[vgprValuC+44], acc84 // copy acc to vreg[84]
v_accvgpr_read_b32 v[vgprValuC+45], acc85 // copy acc to vreg[85]
v_accvgpr_read_b32 v[vgprValuC+46], acc86 // copy acc to vreg[86]
v_accvgpr_read_b32 v[vgprValuC+47], acc87 // copy acc to vreg[87]
v_accvgpr_read_b32 v[vgprValuC+52], acc88 // copy acc to vreg[88]
v_accvgpr_read_b32 v[vgprValuC+53], acc89 // copy acc to vreg[89]
v_accvgpr_read_b32 v[vgprValuC+54], acc90 // copy acc to vreg[90]
v_accvgpr_read_b32 v[vgprValuC+55], acc91 // copy acc to vreg[91]
v_accvgpr_read_b32 v[vgprValuC+56], acc92 // copy acc to vreg[92]
v_accvgpr_read_b32 v[vgprValuC+57], acc93 // copy acc to vreg[93]
v_accvgpr_read_b32 v[vgprValuC+58], acc94 // copy acc to vreg[94]
v_accvgpr_read_b32 v[vgprValuC+59], acc95 // copy acc to vreg[95]
s_nop 1                                            // 2 wait states required before reading vgpr

/* rC *= alpha batchElements=[(2, 0, 0, 0), (2, 1, 0, 0), (2, 2, 0, 0), (2, 3, 0, 0), (2, 4, 0, 0), (2, 5, 0, 0), (2, 6, 0, 0), (2, 7, 0, 0)] */
v_mul_f32 v[vgprValuC+20], s[sgprAlpha], v[vgprValuC+20] // *= alpha
v_mul_f32 v[vgprValuC+21], s[sgprAlpha], v[vgprValuC+21] // *= alpha
	;; [unrolled: 1-line block ×32, first 2 shown]

/* apply mask, calc new C and issue writes */
v_mov_b32 v16, 0x207                               // flag for Nan and +/- inf
v_mov_b32 v14, 0x43700000                          // save 240.0f as max for clipping
v_mov_b32 v15, 0xC3700000                          // save -240.0f as min for clipping

/* StoreRemap: shift coord1 address */
s_mul_i32 s54, s[sgprStrideD1J], 32                // scale StrideD *= numRows(32) * bpe
s_add_u32  s[sgprSrdD+0], s[sgprSrdD+0], s54       // incToNextRow: gra SRD += inc(lower)
s_addc_u32  s[sgprSrdD+1], s[sgprSrdD+1], 0        // incToNextRow: gra SRD += inc(upper)
v_mov_b32 v10, 32                                  // set shift rows
_v_add_u32 v5, v5, v10                             // shift storeRemap coord1

s_waitcnt vmcnt(7)                                 // wait C (interleaved) 7 = 8 - 0 + 0 - 1
V_cvt_pk_f32_fp8 v[12:13], v18    // convert two f8 in lo_16 to f32
_v_mac_f32 v[vgprValuC+20], v12, s[sgprBeta]       // finalSum = sum*alpha + C*beta
_v_mac_f32 v[vgprValuC+21], v13, s[sgprBeta]       // finalSum = sum*alpha + C*beta
V_cvt_pk_f32_fp8 v[12:13], v18  src0_sel:WORD_1  // convert two f8 in hi_16 to f32
_v_mac_f32 v[vgprValuC+22], v12, s[sgprBeta]       // finalSum = sum*alpha + C*beta
_v_mac_f32 v[vgprValuC+23], v13, s[sgprBeta]       // finalSum = sum*alpha + C*beta
v_cmp_class_f32 s[54:55], v[vgprValuC+20], v16     // check NaN and +/-INF
v_med3_f32 v12, v[vgprValuC+20], v14, v15          // Clipping f32 value if exceeds the limit
v_cndmask_b32 v12, v12, v[vgprValuC+20], s[54:55]  // 
v_cmp_class_f32 s[54:55], v[vgprValuC+21], v16     // check NaN and +/-INF
v_med3_f32 v13, v[vgprValuC+21], v14, v15          // Clipping f32 value if exceeds the limit
v_cndmask_b32 v13, v13, v[vgprValuC+21], s[54:55]  // 
v_cvt_pk_fp8_f32  v20, v12, v13 op_sel:[0,0,0]     // convert two f32 accumulated values to fp8 and save it to lo_16[0:15]
v_cmp_class_f32 s[54:55], v[vgprValuC+22], v16     // check NaN and +/-INF
v_med3_f32 v12, v[vgprValuC+22], v14, v15          // Clipping f32 value if exceeds the limit
v_cndmask_b32 v12, v12, v[vgprValuC+22], s[54:55]  // 
v_cmp_class_f32 s[54:55], v[vgprValuC+23], v16     // check NaN and +/-INF
v_med3_f32 v13, v[vgprValuC+23], v14, v15          // Clipping f32 value if exceeds the limit
v_cndmask_b32 v13, v13, v[vgprValuC+23], s[54:55]  // 
v_cvt_pk_fp8_f32  v20, v12, v13 op_sel:[0,0,1]     // convert two f32 accumulated values to fp8 and save it to hi_16[16:31]
_ds_store_b32 v7, v20, offset:0                    // storeRemap lw

s_waitcnt vmcnt(6)                                 // wait C (interleaved) 6 = 8 - 1 + 0 - 1
V_cvt_pk_f32_fp8 v[12:13], v19    // convert two f8 in lo_16 to f32
_v_mac_f32 v[vgprValuC+24], v12, s[sgprBeta]       // finalSum = sum*alpha + C*beta
_v_mac_f32 v[vgprValuC+25], v13, s[sgprBeta]       // finalSum = sum*alpha + C*beta
V_cvt_pk_f32_fp8 v[12:13], v19  src0_sel:WORD_1  // convert two f8 in hi_16 to f32
_v_mac_f32 v[vgprValuC+26], v12, s[sgprBeta]       // finalSum = sum*alpha + C*beta
_v_mac_f32 v[vgprValuC+27], v13, s[sgprBeta]       // finalSum = sum*alpha + C*beta
v_cmp_class_f32 s[54:55], v[vgprValuC+24], v16     // check NaN and +/-INF
v_med3_f32 v12, v[vgprValuC+24], v14, v15          // Clipping f32 value if exceeds the limit
v_cndmask_b32 v12, v12, v[vgprValuC+24], s[54:55]  // 
v_cmp_class_f32 s[54:55], v[vgprValuC+25], v16     // check NaN and +/-INF
v_med3_f32 v13, v[vgprValuC+25], v14, v15          // Clipping f32 value if exceeds the limit
v_cndmask_b32 v13, v13, v[vgprValuC+25], s[54:55]  // 
v_cvt_pk_fp8_f32  v24, v12, v13 op_sel:[0,0,0]     // convert two f32 accumulated values to fp8 and save it to lo_16[0:15]
v_cmp_class_f32 s[54:55], v[vgprValuC+26], v16     // check NaN and +/-INF
v_med3_f32 v12, v[vgprValuC+26], v14, v15          // Clipping f32 value if exceeds the limit
v_cndmask_b32 v12, v12, v[vgprValuC+26], s[54:55]  // 
v_cmp_class_f32 s[54:55], v[vgprValuC+27], v16     // check NaN and +/-INF
v_med3_f32 v13, v[vgprValuC+27], v14, v15          // Clipping f32 value if exceeds the limit
v_cndmask_b32 v13, v13, v[vgprValuC+27], s[54:55]  // 
v_cvt_pk_fp8_f32  v24, v12, v13 op_sel:[0,0,1]     // convert two f32 accumulated values to fp8 and save it to hi_16[16:31]
_ds_store_b32 v7, v24, offset:8                    // storeRemap lw

s_waitcnt vmcnt(5)                                 // wait C (interleaved) 5 = 8 - 2 + 0 - 1
V_cvt_pk_f32_fp8 v[12:13], v28    // convert two f8 in lo_16 to f32
_v_mac_f32 v[vgprValuC+32], v12, s[sgprBeta]       // finalSum = sum*alpha + C*beta
_v_mac_f32 v[vgprValuC+33], v13, s[sgprBeta]       // finalSum = sum*alpha + C*beta
V_cvt_pk_f32_fp8 v[12:13], v28  src0_sel:WORD_1  // convert two f8 in hi_16 to f32
_v_mac_f32 v[vgprValuC+34], v12, s[sgprBeta]       // finalSum = sum*alpha + C*beta
_v_mac_f32 v[vgprValuC+35], v13, s[sgprBeta]       // finalSum = sum*alpha + C*beta
v_cmp_class_f32 s[54:55], v[vgprValuC+32], v16     // check NaN and +/-INF
v_med3_f32 v12, v[vgprValuC+32], v14, v15          // Clipping f32 value if exceeds the limit
v_cndmask_b32 v12, v12, v[vgprValuC+32], s[54:55]  // 
v_cmp_class_f32 s[54:55], v[vgprValuC+33], v16     // check NaN and +/-INF
v_med3_f32 v13, v[vgprValuC+33], v14, v15          // Clipping f32 value if exceeds the limit
v_cndmask_b32 v13, v13, v[vgprValuC+33], s[54:55]  // 
v_cvt_pk_fp8_f32  v32, v12, v13 op_sel:[0,0,0]     // convert two f32 accumulated values to fp8 and save it to lo_16[0:15]
v_cmp_class_f32 s[54:55], v[vgprValuC+34], v16     // check NaN and +/-INF
v_med3_f32 v12, v[vgprValuC+34], v14, v15          // Clipping f32 value if exceeds the limit
v_cndmask_b32 v12, v12, v[vgprValuC+34], s[54:55]  // 
v_cmp_class_f32 s[54:55], v[vgprValuC+35], v16     // check NaN and +/-INF
v_med3_f32 v13, v[vgprValuC+35], v14, v15          // Clipping f32 value if exceeds the limit
v_cndmask_b32 v13, v13, v[vgprValuC+35], s[54:55]  // 
v_cvt_pk_fp8_f32  v32, v12, v13 op_sel:[0,0,1]     // convert two f32 accumulated values to fp8 and save it to hi_16[16:31]
_ds_store_b32 v7, v32, offset:16                   // storeRemap lw

s_waitcnt vmcnt(4)                                 // wait C (interleaved) 4 = 8 - 3 + 0 - 1
V_cvt_pk_f32_fp8 v[12:13], v29    // convert two f8 in lo_16 to f32
_v_mac_f32 v[vgprValuC+36], v12, s[sgprBeta]       // finalSum = sum*alpha + C*beta
_v_mac_f32 v[vgprValuC+37], v13, s[sgprBeta]       // finalSum = sum*alpha + C*beta
V_cvt_pk_f32_fp8 v[12:13], v29  src0_sel:WORD_1  // convert two f8 in hi_16 to f32
_v_mac_f32 v[vgprValuC+38], v12, s[sgprBeta]       // finalSum = sum*alpha + C*beta
_v_mac_f32 v[vgprValuC+39], v13, s[sgprBeta]       // finalSum = sum*alpha + C*beta
v_cmp_class_f32 s[54:55], v[vgprValuC+36], v16     // check NaN and +/-INF
v_med3_f32 v12, v[vgprValuC+36], v14, v15          // Clipping f32 value if exceeds the limit
v_cndmask_b32 v12, v12, v[vgprValuC+36], s[54:55]  // 
v_cmp_class_f32 s[54:55], v[vgprValuC+37], v16     // check NaN and +/-INF
v_med3_f32 v13, v[vgprValuC+37], v14, v15          // Clipping f32 value if exceeds the limit
v_cndmask_b32 v13, v13, v[vgprValuC+37], s[54:55]  // 
v_cvt_pk_fp8_f32  v36, v12, v13 op_sel:[0,0,0]     // convert two f32 accumulated values to fp8 and save it to lo_16[0:15]
v_cmp_class_f32 s[54:55], v[vgprValuC+38], v16     // check NaN and +/-INF
v_med3_f32 v12, v[vgprValuC+38], v14, v15          // Clipping f32 value if exceeds the limit
v_cndmask_b32 v12, v12, v[vgprValuC+38], s[54:55]  // 
v_cmp_class_f32 s[54:55], v[vgprValuC+39], v16     // check NaN and +/-INF
v_med3_f32 v13, v[vgprValuC+39], v14, v15          // Clipping f32 value if exceeds the limit
v_cndmask_b32 v13, v13, v[vgprValuC+39], s[54:55]  // 
v_cvt_pk_fp8_f32  v36, v12, v13 op_sel:[0,0,1]     // convert two f32 accumulated values to fp8 and save it to hi_16[16:31]
_ds_store_b32 v7, v36, offset:24                   // storeRemap lw

s_waitcnt vmcnt(3)                                 // wait C (interleaved) 3 = 8 - 4 + 0 - 1
V_cvt_pk_f32_fp8 v[12:13], v30    // convert two f8 in lo_16 to f32
_v_mac_f32 v[vgprValuC+40], v12, s[sgprBeta]       // finalSum = sum*alpha + C*beta
_v_mac_f32 v[vgprValuC+41], v13, s[sgprBeta]       // finalSum = sum*alpha + C*beta
V_cvt_pk_f32_fp8 v[12:13], v30  src0_sel:WORD_1  // convert two f8 in hi_16 to f32
_v_mac_f32 v[vgprValuC+42], v12, s[sgprBeta]       // finalSum = sum*alpha + C*beta
_v_mac_f32 v[vgprValuC+43], v13, s[sgprBeta]       // finalSum = sum*alpha + C*beta
v_cmp_class_f32 s[54:55], v[vgprValuC+40], v16     // check NaN and +/-INF
v_med3_f32 v12, v[vgprValuC+40], v14, v15          // Clipping f32 value if exceeds the limit
v_cndmask_b32 v12, v12, v[vgprValuC+40], s[54:55]  // 
v_cmp_class_f32 s[54:55], v[vgprValuC+41], v16     // check NaN and +/-INF
v_med3_f32 v13, v[vgprValuC+41], v14, v15          // Clipping f32 value if exceeds the limit
v_cndmask_b32 v13, v13, v[vgprValuC+41], s[54:55]  // 
v_cvt_pk_fp8_f32  v40, v12, v13 op_sel:[0,0,0]     // convert two f32 accumulated values to fp8 and save it to lo_16[0:15]
v_cmp_class_f32 s[54:55], v[vgprValuC+42], v16     // check NaN and +/-INF
v_med3_f32 v12, v[vgprValuC+42], v14, v15          // Clipping f32 value if exceeds the limit
v_cndmask_b32 v12, v12, v[vgprValuC+42], s[54:55]  // 
v_cmp_class_f32 s[54:55], v[vgprValuC+43], v16     // check NaN and +/-INF
v_med3_f32 v13, v[vgprValuC+43], v14, v15          // Clipping f32 value if exceeds the limit
v_cndmask_b32 v13, v13, v[vgprValuC+43], s[54:55]  // 
v_cvt_pk_fp8_f32  v40, v12, v13 op_sel:[0,0,1]     // convert two f32 accumulated values to fp8 and save it to hi_16[16:31]
_ds_store_b32 v7, v40, offset:128                  // storeRemap lw

s_waitcnt vmcnt(2)                                 // wait C (interleaved) 2 = 8 - 5 + 0 - 1
V_cvt_pk_f32_fp8 v[12:13], v31    // convert two f8 in lo_16 to f32
_v_mac_f32 v[vgprValuC+44], v12, s[sgprBeta]       // finalSum = sum*alpha + C*beta
_v_mac_f32 v[vgprValuC+45], v13, s[sgprBeta]       // finalSum = sum*alpha + C*beta
V_cvt_pk_f32_fp8 v[12:13], v31  src0_sel:WORD_1  // convert two f8 in hi_16 to f32
_v_mac_f32 v[vgprValuC+46], v12, s[sgprBeta]       // finalSum = sum*alpha + C*beta
_v_mac_f32 v[vgprValuC+47], v13, s[sgprBeta]       // finalSum = sum*alpha + C*beta
v_cmp_class_f32 s[54:55], v[vgprValuC+44], v16     // check NaN and +/-INF
v_med3_f32 v12, v[vgprValuC+44], v14, v15          // Clipping f32 value if exceeds the limit
v_cndmask_b32 v12, v12, v[vgprValuC+44], s[54:55]  // 
v_cmp_class_f32 s[54:55], v[vgprValuC+45], v16     // check NaN and +/-INF
v_med3_f32 v13, v[vgprValuC+45], v14, v15          // Clipping f32 value if exceeds the limit
v_cndmask_b32 v13, v13, v[vgprValuC+45], s[54:55]  // 
v_cvt_pk_fp8_f32  v44, v12, v13 op_sel:[0,0,0]     // convert two f32 accumulated values to fp8 and save it to lo_16[0:15]
v_cmp_class_f32 s[54:55], v[vgprValuC+46], v16     // check NaN and +/-INF
v_med3_f32 v12, v[vgprValuC+46], v14, v15          // Clipping f32 value if exceeds the limit
v_cndmask_b32 v12, v12, v[vgprValuC+46], s[54:55]  // 
v_cmp_class_f32 s[54:55], v[vgprValuC+47], v16     // check NaN and +/-INF
v_med3_f32 v13, v[vgprValuC+47], v14, v15          // Clipping f32 value if exceeds the limit
v_cndmask_b32 v13, v13, v[vgprValuC+47], s[54:55]  // 
v_cvt_pk_fp8_f32  v44, v12, v13 op_sel:[0,0,1]     // convert two f32 accumulated values to fp8 and save it to hi_16[16:31]
_ds_store_b32 v7, v44, offset:136                  // storeRemap lw
	;; [unrolled: 23-line block ×4, first 2 shown]

/* Handle local read and global write */
s_waitcnt lgkmcnt(0)                               // wait for LDS write
s_barrier //wait all lds write finished

_ds_load_b128 v[20:23], v8, offset:0               // storeRemap lr
_ds_load_b128 v[24:27], v8, offset:1088            // storeRemap lr

v_mov_b32 v18, v6                                  // coord1
v_mul_lo_u32 v18, v18, s[sgprStrideD1J]            // coord1 offset =  coord1 * StrideD
_v_add_lshl_u32 v18, v18, v4, 0x0                  // global write D address
s_waitcnt lgkmcnt(1)                               // wait for LDS read
_buffer_store_b128 v[20:23], v18, s[sgprSrdD:sgprSrdD+3], 0, offen, offset:0 // store D
_v_add_u32 v18, v6, 4                              // coord1 += nColPerLoad
v_mul_lo_u32 v18, v18, s[sgprStrideD1J]            // coord1 offset =  coord1 * StrideD
_v_add_lshl_u32 v18, v18, v4, 0x0                  // global write D address
s_waitcnt lgkmcnt(0)                               // wait for LDS read
_buffer_store_b128 v[24:27], v18, s[sgprSrdD:sgprSrdD+3], 0, offen, offset:0 // store D

s_barrier //wait all lds read finished
s_nop 0                                            // 1 wait state required when next inst writes vgprs held by previous dwordx4 store inst
/* optSingleColVgpr=1 optSharedColVgpr=0 optSGPRUsage=BufferLoad_Mask optSrdIncForRow=1 */

/******************************************/
/* Global Write Alpha Beta Batch #3 (d1,d0,vc1,vc0) = */
/*    (3,0,0,0:vw4); (3,1,0,0:vw4); (3,2,0,0:vw4); (3,3,0,0:vw4); (3,4,0,0:vw4); (3,5,0,0:vw4); (3,6,0,0:vw4); (3,7,0,0:vw4) */
/******************************************/

/* calc coords, apply mask, and issue loads (if necessary) */
/* (d1,vc1,d0,vc0)=(3,0,0,0) */
s_mul_i32 s54, s[sgprStrideC1J], 32                // scale StrideC *= numRows(32) * bpe
s_add_u32  s[sgprSrdC+0], s[sgprSrdC+0], s54       // incToNextRow: gra SRD += inc(lower)
s_addc_u32  s[sgprSrdC+1], s[sgprSrdC+1], 0        // incToNextRow: gra SRD += inc(upper)
_buffer_load_b32 v18, v17, s[sgprSrdC:sgprSrdC+3], 0, offen offset:0 // load C for beta calc
/* (d1,vc1,d0,vc0)=(3,0,1,0) */
_buffer_load_b32 v19, v17, s[sgprSrdC:sgprSrdC+3], 0, offen offset:8 // load C for beta calc
/* (d1,vc1,d0,vc0)=(3,0,2,0) */
	;; [unrolled: 2-line block ×7, first 2 shown]
_buffer_load_b32 v49, v17, s[sgprSrdC:sgprSrdC+3], 0, offen offset:152 // load C for beta calc
v_accvgpr_read_b32 v[vgprValuC+20], acc96 // copy acc to vreg[96]
v_accvgpr_read_b32 v[vgprValuC+21], acc97 // copy acc to vreg[97]
v_accvgpr_read_b32 v[vgprValuC+22], acc98 // copy acc to vreg[98]
v_accvgpr_read_b32 v[vgprValuC+23], acc99 // copy acc to vreg[99]
v_accvgpr_read_b32 v[vgprValuC+24], acc100 // copy acc to vreg[100]
v_accvgpr_read_b32 v[vgprValuC+25], acc101 // copy acc to vreg[101]
v_accvgpr_read_b32 v[vgprValuC+26], acc102 // copy acc to vreg[102]
v_accvgpr_read_b32 v[vgprValuC+27], acc103 // copy acc to vreg[103]
v_accvgpr_read_b32 v[vgprValuC+32], acc104 // copy acc to vreg[104]
v_accvgpr_read_b32 v[vgprValuC+33], acc105 // copy acc to vreg[105]
v_accvgpr_read_b32 v[vgprValuC+34], acc106 // copy acc to vreg[106]
v_accvgpr_read_b32 v[vgprValuC+35], acc107 // copy acc to vreg[107]
v_accvgpr_read_b32 v[vgprValuC+36], acc108 // copy acc to vreg[108]
v_accvgpr_read_b32 v[vgprValuC+37], acc109 // copy acc to vreg[109]
v_accvgpr_read_b32 v[vgprValuC+38], acc110 // copy acc to vreg[110]
v_accvgpr_read_b32 v[vgprValuC+39], acc111 // copy acc to vreg[111]
v_accvgpr_read_b32 v[vgprValuC+40], acc112 // copy acc to vreg[112]
v_accvgpr_read_b32 v[vgprValuC+41], acc113 // copy acc to vreg[113]
v_accvgpr_read_b32 v[vgprValuC+42], acc114 // copy acc to vreg[114]
v_accvgpr_read_b32 v[vgprValuC+43], acc115 // copy acc to vreg[115]
v_accvgpr_read_b32 v[vgprValuC+44], acc116 // copy acc to vreg[116]
v_accvgpr_read_b32 v[vgprValuC+45], acc117 // copy acc to vreg[117]
v_accvgpr_read_b32 v[vgprValuC+46], acc118 // copy acc to vreg[118]
v_accvgpr_read_b32 v[vgprValuC+47], acc119 // copy acc to vreg[119]
v_accvgpr_read_b32 v[vgprValuC+52], acc120 // copy acc to vreg[120]
v_accvgpr_read_b32 v[vgprValuC+53], acc121 // copy acc to vreg[121]
v_accvgpr_read_b32 v[vgprValuC+54], acc122 // copy acc to vreg[122]
v_accvgpr_read_b32 v[vgprValuC+55], acc123 // copy acc to vreg[123]
v_accvgpr_read_b32 v[vgprValuC+56], acc124 // copy acc to vreg[124]
v_accvgpr_read_b32 v[vgprValuC+57], acc125 // copy acc to vreg[125]
v_accvgpr_read_b32 v[vgprValuC+58], acc126 // copy acc to vreg[126]
v_accvgpr_read_b32 v[vgprValuC+59], acc127 // copy acc to vreg[127]
s_nop 1                                            // 2 wait states required before reading vgpr

/* rC *= alpha batchElements=[(3, 0, 0, 0), (3, 1, 0, 0), (3, 2, 0, 0), (3, 3, 0, 0), (3, 4, 0, 0), (3, 5, 0, 0), (3, 6, 0, 0), (3, 7, 0, 0)] */
v_mul_f32 v[vgprValuC+20], s[sgprAlpha], v[vgprValuC+20] // *= alpha
v_mul_f32 v[vgprValuC+21], s[sgprAlpha], v[vgprValuC+21] // *= alpha
	;; [unrolled: 1-line block ×32, first 2 shown]

/* apply mask, calc new C and issue writes */
v_mov_b32 v16, 0x207                               // flag for Nan and +/- inf
v_mov_b32 v14, 0x43700000                          // save 240.0f as max for clipping
v_mov_b32 v15, 0xC3700000                          // save -240.0f as min for clipping

/* StoreRemap: shift coord1 address */
s_mul_i32 s54, s[sgprStrideD1J], 32                // scale StrideD *= numRows(32) * bpe
s_add_u32  s[sgprSrdD+0], s[sgprSrdD+0], s54       // incToNextRow: gra SRD += inc(lower)
s_addc_u32  s[sgprSrdD+1], s[sgprSrdD+1], 0        // incToNextRow: gra SRD += inc(upper)
v_mov_b32 v10, 32                                  // set shift rows
_v_add_u32 v5, v5, v10                             // shift storeRemap coord1

s_waitcnt vmcnt(7)                                 // wait C (interleaved) 7 = 8 - 0 + 0 - 1
V_cvt_pk_f32_fp8 v[12:13], v18    // convert two f8 in lo_16 to f32
_v_mac_f32 v[vgprValuC+20], v12, s[sgprBeta]       // finalSum = sum*alpha + C*beta
_v_mac_f32 v[vgprValuC+21], v13, s[sgprBeta]       // finalSum = sum*alpha + C*beta
V_cvt_pk_f32_fp8 v[12:13], v18  src0_sel:WORD_1  // convert two f8 in hi_16 to f32
_v_mac_f32 v[vgprValuC+22], v12, s[sgprBeta]       // finalSum = sum*alpha + C*beta
_v_mac_f32 v[vgprValuC+23], v13, s[sgprBeta]       // finalSum = sum*alpha + C*beta
v_cmp_class_f32 s[54:55], v[vgprValuC+20], v16     // check NaN and +/-INF
v_med3_f32 v12, v[vgprValuC+20], v14, v15          // Clipping f32 value if exceeds the limit
v_cndmask_b32 v12, v12, v[vgprValuC+20], s[54:55]  // 
v_cmp_class_f32 s[54:55], v[vgprValuC+21], v16     // check NaN and +/-INF
v_med3_f32 v13, v[vgprValuC+21], v14, v15          // Clipping f32 value if exceeds the limit
v_cndmask_b32 v13, v13, v[vgprValuC+21], s[54:55]  // 
v_cvt_pk_fp8_f32  v20, v12, v13 op_sel:[0,0,0]     // convert two f32 accumulated values to fp8 and save it to lo_16[0:15]
v_cmp_class_f32 s[54:55], v[vgprValuC+22], v16     // check NaN and +/-INF
v_med3_f32 v12, v[vgprValuC+22], v14, v15          // Clipping f32 value if exceeds the limit
v_cndmask_b32 v12, v12, v[vgprValuC+22], s[54:55]  // 
v_cmp_class_f32 s[54:55], v[vgprValuC+23], v16     // check NaN and +/-INF
v_med3_f32 v13, v[vgprValuC+23], v14, v15          // Clipping f32 value if exceeds the limit
v_cndmask_b32 v13, v13, v[vgprValuC+23], s[54:55]  // 
v_cvt_pk_fp8_f32  v20, v12, v13 op_sel:[0,0,1]     // convert two f32 accumulated values to fp8 and save it to hi_16[16:31]
_ds_store_b32 v7, v20, offset:0                    // storeRemap lw

s_waitcnt vmcnt(6)                                 // wait C (interleaved) 6 = 8 - 1 + 0 - 1
V_cvt_pk_f32_fp8 v[12:13], v19    // convert two f8 in lo_16 to f32
_v_mac_f32 v[vgprValuC+24], v12, s[sgprBeta]       // finalSum = sum*alpha + C*beta
_v_mac_f32 v[vgprValuC+25], v13, s[sgprBeta]       // finalSum = sum*alpha + C*beta
V_cvt_pk_f32_fp8 v[12:13], v19  src0_sel:WORD_1  // convert two f8 in hi_16 to f32
_v_mac_f32 v[vgprValuC+26], v12, s[sgprBeta]       // finalSum = sum*alpha + C*beta
_v_mac_f32 v[vgprValuC+27], v13, s[sgprBeta]       // finalSum = sum*alpha + C*beta
v_cmp_class_f32 s[54:55], v[vgprValuC+24], v16     // check NaN and +/-INF
v_med3_f32 v12, v[vgprValuC+24], v14, v15          // Clipping f32 value if exceeds the limit
v_cndmask_b32 v12, v12, v[vgprValuC+24], s[54:55]  // 
v_cmp_class_f32 s[54:55], v[vgprValuC+25], v16     // check NaN and +/-INF
v_med3_f32 v13, v[vgprValuC+25], v14, v15          // Clipping f32 value if exceeds the limit
v_cndmask_b32 v13, v13, v[vgprValuC+25], s[54:55]  // 
v_cvt_pk_fp8_f32  v24, v12, v13 op_sel:[0,0,0]     // convert two f32 accumulated values to fp8 and save it to lo_16[0:15]
v_cmp_class_f32 s[54:55], v[vgprValuC+26], v16     // check NaN and +/-INF
v_med3_f32 v12, v[vgprValuC+26], v14, v15          // Clipping f32 value if exceeds the limit
v_cndmask_b32 v12, v12, v[vgprValuC+26], s[54:55]  // 
v_cmp_class_f32 s[54:55], v[vgprValuC+27], v16     // check NaN and +/-INF
v_med3_f32 v13, v[vgprValuC+27], v14, v15          // Clipping f32 value if exceeds the limit
v_cndmask_b32 v13, v13, v[vgprValuC+27], s[54:55]  // 
v_cvt_pk_fp8_f32  v24, v12, v13 op_sel:[0,0,1]     // convert two f32 accumulated values to fp8 and save it to hi_16[16:31]
_ds_store_b32 v7, v24, offset:8                    // storeRemap lw

s_waitcnt vmcnt(5)                                 // wait C (interleaved) 5 = 8 - 2 + 0 - 1
V_cvt_pk_f32_fp8 v[12:13], v28    // convert two f8 in lo_16 to f32
_v_mac_f32 v[vgprValuC+32], v12, s[sgprBeta]       // finalSum = sum*alpha + C*beta
_v_mac_f32 v[vgprValuC+33], v13, s[sgprBeta]       // finalSum = sum*alpha + C*beta
V_cvt_pk_f32_fp8 v[12:13], v28  src0_sel:WORD_1  // convert two f8 in hi_16 to f32
_v_mac_f32 v[vgprValuC+34], v12, s[sgprBeta]       // finalSum = sum*alpha + C*beta
_v_mac_f32 v[vgprValuC+35], v13, s[sgprBeta]       // finalSum = sum*alpha + C*beta
v_cmp_class_f32 s[54:55], v[vgprValuC+32], v16     // check NaN and +/-INF
v_med3_f32 v12, v[vgprValuC+32], v14, v15          // Clipping f32 value if exceeds the limit
v_cndmask_b32 v12, v12, v[vgprValuC+32], s[54:55]  // 
v_cmp_class_f32 s[54:55], v[vgprValuC+33], v16     // check NaN and +/-INF
v_med3_f32 v13, v[vgprValuC+33], v14, v15          // Clipping f32 value if exceeds the limit
v_cndmask_b32 v13, v13, v[vgprValuC+33], s[54:55]  // 
v_cvt_pk_fp8_f32  v32, v12, v13 op_sel:[0,0,0]     // convert two f32 accumulated values to fp8 and save it to lo_16[0:15]
v_cmp_class_f32 s[54:55], v[vgprValuC+34], v16     // check NaN and +/-INF
v_med3_f32 v12, v[vgprValuC+34], v14, v15          // Clipping f32 value if exceeds the limit
v_cndmask_b32 v12, v12, v[vgprValuC+34], s[54:55]  // 
v_cmp_class_f32 s[54:55], v[vgprValuC+35], v16     // check NaN and +/-INF
v_med3_f32 v13, v[vgprValuC+35], v14, v15          // Clipping f32 value if exceeds the limit
v_cndmask_b32 v13, v13, v[vgprValuC+35], s[54:55]  // 
v_cvt_pk_fp8_f32  v32, v12, v13 op_sel:[0,0,1]     // convert two f32 accumulated values to fp8 and save it to hi_16[16:31]
_ds_store_b32 v7, v32, offset:16                   // storeRemap lw

s_waitcnt vmcnt(4)                                 // wait C (interleaved) 4 = 8 - 3 + 0 - 1
V_cvt_pk_f32_fp8 v[12:13], v29    // convert two f8 in lo_16 to f32
_v_mac_f32 v[vgprValuC+36], v12, s[sgprBeta]       // finalSum = sum*alpha + C*beta
_v_mac_f32 v[vgprValuC+37], v13, s[sgprBeta]       // finalSum = sum*alpha + C*beta
V_cvt_pk_f32_fp8 v[12:13], v29  src0_sel:WORD_1  // convert two f8 in hi_16 to f32
_v_mac_f32 v[vgprValuC+38], v12, s[sgprBeta]       // finalSum = sum*alpha + C*beta
_v_mac_f32 v[vgprValuC+39], v13, s[sgprBeta]       // finalSum = sum*alpha + C*beta
v_cmp_class_f32 s[54:55], v[vgprValuC+36], v16     // check NaN and +/-INF
v_med3_f32 v12, v[vgprValuC+36], v14, v15          // Clipping f32 value if exceeds the limit
v_cndmask_b32 v12, v12, v[vgprValuC+36], s[54:55]  // 
v_cmp_class_f32 s[54:55], v[vgprValuC+37], v16     // check NaN and +/-INF
v_med3_f32 v13, v[vgprValuC+37], v14, v15          // Clipping f32 value if exceeds the limit
v_cndmask_b32 v13, v13, v[vgprValuC+37], s[54:55]  // 
v_cvt_pk_fp8_f32  v36, v12, v13 op_sel:[0,0,0]     // convert two f32 accumulated values to fp8 and save it to lo_16[0:15]
v_cmp_class_f32 s[54:55], v[vgprValuC+38], v16     // check NaN and +/-INF
v_med3_f32 v12, v[vgprValuC+38], v14, v15          // Clipping f32 value if exceeds the limit
v_cndmask_b32 v12, v12, v[vgprValuC+38], s[54:55]  // 
v_cmp_class_f32 s[54:55], v[vgprValuC+39], v16     // check NaN and +/-INF
v_med3_f32 v13, v[vgprValuC+39], v14, v15          // Clipping f32 value if exceeds the limit
v_cndmask_b32 v13, v13, v[vgprValuC+39], s[54:55]  // 
v_cvt_pk_fp8_f32  v36, v12, v13 op_sel:[0,0,1]     // convert two f32 accumulated values to fp8 and save it to hi_16[16:31]
_ds_store_b32 v7, v36, offset:24                   // storeRemap lw

s_waitcnt vmcnt(3)                                 // wait C (interleaved) 3 = 8 - 4 + 0 - 1
V_cvt_pk_f32_fp8 v[12:13], v30    // convert two f8 in lo_16 to f32
_v_mac_f32 v[vgprValuC+40], v12, s[sgprBeta]       // finalSum = sum*alpha + C*beta
_v_mac_f32 v[vgprValuC+41], v13, s[sgprBeta]       // finalSum = sum*alpha + C*beta
V_cvt_pk_f32_fp8 v[12:13], v30  src0_sel:WORD_1  // convert two f8 in hi_16 to f32
_v_mac_f32 v[vgprValuC+42], v12, s[sgprBeta]       // finalSum = sum*alpha + C*beta
_v_mac_f32 v[vgprValuC+43], v13, s[sgprBeta]       // finalSum = sum*alpha + C*beta
v_cmp_class_f32 s[54:55], v[vgprValuC+40], v16     // check NaN and +/-INF
v_med3_f32 v12, v[vgprValuC+40], v14, v15          // Clipping f32 value if exceeds the limit
v_cndmask_b32 v12, v12, v[vgprValuC+40], s[54:55]  // 
v_cmp_class_f32 s[54:55], v[vgprValuC+41], v16     // check NaN and +/-INF
v_med3_f32 v13, v[vgprValuC+41], v14, v15          // Clipping f32 value if exceeds the limit
v_cndmask_b32 v13, v13, v[vgprValuC+41], s[54:55]  // 
v_cvt_pk_fp8_f32  v40, v12, v13 op_sel:[0,0,0]     // convert two f32 accumulated values to fp8 and save it to lo_16[0:15]
v_cmp_class_f32 s[54:55], v[vgprValuC+42], v16     // check NaN and +/-INF
v_med3_f32 v12, v[vgprValuC+42], v14, v15          // Clipping f32 value if exceeds the limit
v_cndmask_b32 v12, v12, v[vgprValuC+42], s[54:55]  // 
v_cmp_class_f32 s[54:55], v[vgprValuC+43], v16     // check NaN and +/-INF
v_med3_f32 v13, v[vgprValuC+43], v14, v15          // Clipping f32 value if exceeds the limit
v_cndmask_b32 v13, v13, v[vgprValuC+43], s[54:55]  // 
v_cvt_pk_fp8_f32  v40, v12, v13 op_sel:[0,0,1]     // convert two f32 accumulated values to fp8 and save it to hi_16[16:31]
_ds_store_b32 v7, v40, offset:128                  // storeRemap lw

s_waitcnt vmcnt(2)                                 // wait C (interleaved) 2 = 8 - 5 + 0 - 1
V_cvt_pk_f32_fp8 v[12:13], v31    // convert two f8 in lo_16 to f32
_v_mac_f32 v[vgprValuC+44], v12, s[sgprBeta]       // finalSum = sum*alpha + C*beta
_v_mac_f32 v[vgprValuC+45], v13, s[sgprBeta]       // finalSum = sum*alpha + C*beta
V_cvt_pk_f32_fp8 v[12:13], v31  src0_sel:WORD_1  // convert two f8 in hi_16 to f32
_v_mac_f32 v[vgprValuC+46], v12, s[sgprBeta]       // finalSum = sum*alpha + C*beta
_v_mac_f32 v[vgprValuC+47], v13, s[sgprBeta]       // finalSum = sum*alpha + C*beta
v_cmp_class_f32 s[54:55], v[vgprValuC+44], v16     // check NaN and +/-INF
v_med3_f32 v12, v[vgprValuC+44], v14, v15          // Clipping f32 value if exceeds the limit
v_cndmask_b32 v12, v12, v[vgprValuC+44], s[54:55]  // 
v_cmp_class_f32 s[54:55], v[vgprValuC+45], v16     // check NaN and +/-INF
v_med3_f32 v13, v[vgprValuC+45], v14, v15          // Clipping f32 value if exceeds the limit
v_cndmask_b32 v13, v13, v[vgprValuC+45], s[54:55]  // 
v_cvt_pk_fp8_f32  v44, v12, v13 op_sel:[0,0,0]     // convert two f32 accumulated values to fp8 and save it to lo_16[0:15]
v_cmp_class_f32 s[54:55], v[vgprValuC+46], v16     // check NaN and +/-INF
v_med3_f32 v12, v[vgprValuC+46], v14, v15          // Clipping f32 value if exceeds the limit
v_cndmask_b32 v12, v12, v[vgprValuC+46], s[54:55]  // 
v_cmp_class_f32 s[54:55], v[vgprValuC+47], v16     // check NaN and +/-INF
v_med3_f32 v13, v[vgprValuC+47], v14, v15          // Clipping f32 value if exceeds the limit
v_cndmask_b32 v13, v13, v[vgprValuC+47], s[54:55]  // 
v_cvt_pk_fp8_f32  v44, v12, v13 op_sel:[0,0,1]     // convert two f32 accumulated values to fp8 and save it to hi_16[16:31]
_ds_store_b32 v7, v44, offset:136                  // storeRemap lw
	;; [unrolled: 23-line block ×4, first 2 shown]

/* Handle local read and global write */
s_waitcnt lgkmcnt(0)                               // wait for LDS write
s_barrier //wait all lds write finished

_ds_load_b128 v[20:23], v8, offset:0               // storeRemap lr
_ds_load_b128 v[24:27], v8, offset:1088            // storeRemap lr

v_mov_b32 v18, v6                                  // coord1
v_mul_lo_u32 v18, v18, s[sgprStrideD1J]            // coord1 offset =  coord1 * StrideD
_v_add_lshl_u32 v18, v18, v4, 0x0                  // global write D address
s_waitcnt lgkmcnt(1)                               // wait for LDS read
_buffer_store_b128 v[20:23], v18, s[sgprSrdD:sgprSrdD+3], 0, offen, offset:0 // store D
_v_add_u32 v18, v6, 4                              // coord1 += nColPerLoad
v_mul_lo_u32 v18, v18, s[sgprStrideD1J]            // coord1 offset =  coord1 * StrideD
_v_add_lshl_u32 v18, v18, v4, 0x0                  // global write D address
s_waitcnt lgkmcnt(0)                               // wait for LDS read
_buffer_store_b128 v[24:27], v18, s[sgprSrdD:sgprSrdD+3], 0, offen, offset:0 // store D

s_barrier //wait all lds read finished
s_nop 0                                            // 1 wait state required when next inst writes vgprs held by previous dwordx4 store inst
/* optSingleColVgpr=1 optSharedColVgpr=0 optSGPRUsage=BufferLoad_Mask optSrdIncForRow=1 */

/******************************************/
/* Global Write Alpha Beta Batch #4 (d1,d0,vc1,vc0) = */
/*    (4,0,0,0:vw4); (4,1,0,0:vw4); (4,2,0,0:vw4); (4,3,0,0:vw4); (4,4,0,0:vw4); (4,5,0,0:vw4); (4,6,0,0:vw4); (4,7,0,0:vw4) */
/******************************************/

/* calc coords, apply mask, and issue loads (if necessary) */
/* (d1,vc1,d0,vc0)=(4,0,0,0) */
s_mul_i32 s54, s[sgprStrideC1J], 32                // scale StrideC *= numRows(32) * bpe
s_add_u32  s[sgprSrdC+0], s[sgprSrdC+0], s54       // incToNextRow: gra SRD += inc(lower)
s_addc_u32  s[sgprSrdC+1], s[sgprSrdC+1], 0        // incToNextRow: gra SRD += inc(upper)
_buffer_load_b32 v18, v17, s[sgprSrdC:sgprSrdC+3], 0, offen offset:0 // load C for beta calc
/* (d1,vc1,d0,vc0)=(4,0,1,0) */
_buffer_load_b32 v19, v17, s[sgprSrdC:sgprSrdC+3], 0, offen offset:8 // load C for beta calc
/* (d1,vc1,d0,vc0)=(4,0,2,0) */
	;; [unrolled: 2-line block ×7, first 2 shown]
_buffer_load_b32 v49, v17, s[sgprSrdC:sgprSrdC+3], 0, offen offset:152 // load C for beta calc
v_accvgpr_read_b32 v[vgprValuC+20], acc128 // copy acc to vreg[128]
v_accvgpr_read_b32 v[vgprValuC+21], acc129 // copy acc to vreg[129]
v_accvgpr_read_b32 v[vgprValuC+22], acc130 // copy acc to vreg[130]
v_accvgpr_read_b32 v[vgprValuC+23], acc131 // copy acc to vreg[131]
v_accvgpr_read_b32 v[vgprValuC+24], acc132 // copy acc to vreg[132]
v_accvgpr_read_b32 v[vgprValuC+25], acc133 // copy acc to vreg[133]
v_accvgpr_read_b32 v[vgprValuC+26], acc134 // copy acc to vreg[134]
v_accvgpr_read_b32 v[vgprValuC+27], acc135 // copy acc to vreg[135]
v_accvgpr_read_b32 v[vgprValuC+32], acc136 // copy acc to vreg[136]
v_accvgpr_read_b32 v[vgprValuC+33], acc137 // copy acc to vreg[137]
v_accvgpr_read_b32 v[vgprValuC+34], acc138 // copy acc to vreg[138]
v_accvgpr_read_b32 v[vgprValuC+35], acc139 // copy acc to vreg[139]
v_accvgpr_read_b32 v[vgprValuC+36], acc140 // copy acc to vreg[140]
v_accvgpr_read_b32 v[vgprValuC+37], acc141 // copy acc to vreg[141]
v_accvgpr_read_b32 v[vgprValuC+38], acc142 // copy acc to vreg[142]
v_accvgpr_read_b32 v[vgprValuC+39], acc143 // copy acc to vreg[143]
v_accvgpr_read_b32 v[vgprValuC+40], acc144 // copy acc to vreg[144]
v_accvgpr_read_b32 v[vgprValuC+41], acc145 // copy acc to vreg[145]
v_accvgpr_read_b32 v[vgprValuC+42], acc146 // copy acc to vreg[146]
v_accvgpr_read_b32 v[vgprValuC+43], acc147 // copy acc to vreg[147]
v_accvgpr_read_b32 v[vgprValuC+44], acc148 // copy acc to vreg[148]
v_accvgpr_read_b32 v[vgprValuC+45], acc149 // copy acc to vreg[149]
v_accvgpr_read_b32 v[vgprValuC+46], acc150 // copy acc to vreg[150]
v_accvgpr_read_b32 v[vgprValuC+47], acc151 // copy acc to vreg[151]
v_accvgpr_read_b32 v[vgprValuC+52], acc152 // copy acc to vreg[152]
v_accvgpr_read_b32 v[vgprValuC+53], acc153 // copy acc to vreg[153]
v_accvgpr_read_b32 v[vgprValuC+54], acc154 // copy acc to vreg[154]
v_accvgpr_read_b32 v[vgprValuC+55], acc155 // copy acc to vreg[155]
v_accvgpr_read_b32 v[vgprValuC+56], acc156 // copy acc to vreg[156]
v_accvgpr_read_b32 v[vgprValuC+57], acc157 // copy acc to vreg[157]
v_accvgpr_read_b32 v[vgprValuC+58], acc158 // copy acc to vreg[158]
v_accvgpr_read_b32 v[vgprValuC+59], acc159 // copy acc to vreg[159]
s_nop 1                                            // 2 wait states required before reading vgpr

/* rC *= alpha batchElements=[(4, 0, 0, 0), (4, 1, 0, 0), (4, 2, 0, 0), (4, 3, 0, 0), (4, 4, 0, 0), (4, 5, 0, 0), (4, 6, 0, 0), (4, 7, 0, 0)] */
v_mul_f32 v[vgprValuC+20], s[sgprAlpha], v[vgprValuC+20] // *= alpha
v_mul_f32 v[vgprValuC+21], s[sgprAlpha], v[vgprValuC+21] // *= alpha
	;; [unrolled: 1-line block ×32, first 2 shown]

/* apply mask, calc new C and issue writes */
v_mov_b32 v16, 0x207                               // flag for Nan and +/- inf
v_mov_b32 v14, 0x43700000                          // save 240.0f as max for clipping
v_mov_b32 v15, 0xC3700000                          // save -240.0f as min for clipping

/* StoreRemap: shift coord1 address */
s_mul_i32 s54, s[sgprStrideD1J], 32                // scale StrideD *= numRows(32) * bpe
s_add_u32  s[sgprSrdD+0], s[sgprSrdD+0], s54       // incToNextRow: gra SRD += inc(lower)
s_addc_u32  s[sgprSrdD+1], s[sgprSrdD+1], 0        // incToNextRow: gra SRD += inc(upper)
v_mov_b32 v10, 32                                  // set shift rows
_v_add_u32 v5, v5, v10                             // shift storeRemap coord1

s_waitcnt vmcnt(7)                                 // wait C (interleaved) 7 = 8 - 0 + 0 - 1
V_cvt_pk_f32_fp8 v[12:13], v18    // convert two f8 in lo_16 to f32
_v_mac_f32 v[vgprValuC+20], v12, s[sgprBeta]       // finalSum = sum*alpha + C*beta
_v_mac_f32 v[vgprValuC+21], v13, s[sgprBeta]       // finalSum = sum*alpha + C*beta
V_cvt_pk_f32_fp8 v[12:13], v18  src0_sel:WORD_1  // convert two f8 in hi_16 to f32
_v_mac_f32 v[vgprValuC+22], v12, s[sgprBeta]       // finalSum = sum*alpha + C*beta
_v_mac_f32 v[vgprValuC+23], v13, s[sgprBeta]       // finalSum = sum*alpha + C*beta
v_cmp_class_f32 s[54:55], v[vgprValuC+20], v16     // check NaN and +/-INF
v_med3_f32 v12, v[vgprValuC+20], v14, v15          // Clipping f32 value if exceeds the limit
v_cndmask_b32 v12, v12, v[vgprValuC+20], s[54:55]  // 
v_cmp_class_f32 s[54:55], v[vgprValuC+21], v16     // check NaN and +/-INF
v_med3_f32 v13, v[vgprValuC+21], v14, v15          // Clipping f32 value if exceeds the limit
v_cndmask_b32 v13, v13, v[vgprValuC+21], s[54:55]  // 
v_cvt_pk_fp8_f32  v20, v12, v13 op_sel:[0,0,0]     // convert two f32 accumulated values to fp8 and save it to lo_16[0:15]
v_cmp_class_f32 s[54:55], v[vgprValuC+22], v16     // check NaN and +/-INF
v_med3_f32 v12, v[vgprValuC+22], v14, v15          // Clipping f32 value if exceeds the limit
v_cndmask_b32 v12, v12, v[vgprValuC+22], s[54:55]  // 
v_cmp_class_f32 s[54:55], v[vgprValuC+23], v16     // check NaN and +/-INF
v_med3_f32 v13, v[vgprValuC+23], v14, v15          // Clipping f32 value if exceeds the limit
v_cndmask_b32 v13, v13, v[vgprValuC+23], s[54:55]  // 
v_cvt_pk_fp8_f32  v20, v12, v13 op_sel:[0,0,1]     // convert two f32 accumulated values to fp8 and save it to hi_16[16:31]
_ds_store_b32 v7, v20, offset:0                    // storeRemap lw

s_waitcnt vmcnt(6)                                 // wait C (interleaved) 6 = 8 - 1 + 0 - 1
V_cvt_pk_f32_fp8 v[12:13], v19    // convert two f8 in lo_16 to f32
_v_mac_f32 v[vgprValuC+24], v12, s[sgprBeta]       // finalSum = sum*alpha + C*beta
_v_mac_f32 v[vgprValuC+25], v13, s[sgprBeta]       // finalSum = sum*alpha + C*beta
V_cvt_pk_f32_fp8 v[12:13], v19  src0_sel:WORD_1  // convert two f8 in hi_16 to f32
_v_mac_f32 v[vgprValuC+26], v12, s[sgprBeta]       // finalSum = sum*alpha + C*beta
_v_mac_f32 v[vgprValuC+27], v13, s[sgprBeta]       // finalSum = sum*alpha + C*beta
v_cmp_class_f32 s[54:55], v[vgprValuC+24], v16     // check NaN and +/-INF
v_med3_f32 v12, v[vgprValuC+24], v14, v15          // Clipping f32 value if exceeds the limit
v_cndmask_b32 v12, v12, v[vgprValuC+24], s[54:55]  // 
v_cmp_class_f32 s[54:55], v[vgprValuC+25], v16     // check NaN and +/-INF
v_med3_f32 v13, v[vgprValuC+25], v14, v15          // Clipping f32 value if exceeds the limit
v_cndmask_b32 v13, v13, v[vgprValuC+25], s[54:55]  // 
v_cvt_pk_fp8_f32  v24, v12, v13 op_sel:[0,0,0]     // convert two f32 accumulated values to fp8 and save it to lo_16[0:15]
v_cmp_class_f32 s[54:55], v[vgprValuC+26], v16     // check NaN and +/-INF
v_med3_f32 v12, v[vgprValuC+26], v14, v15          // Clipping f32 value if exceeds the limit
v_cndmask_b32 v12, v12, v[vgprValuC+26], s[54:55]  // 
v_cmp_class_f32 s[54:55], v[vgprValuC+27], v16     // check NaN and +/-INF
v_med3_f32 v13, v[vgprValuC+27], v14, v15          // Clipping f32 value if exceeds the limit
v_cndmask_b32 v13, v13, v[vgprValuC+27], s[54:55]  // 
v_cvt_pk_fp8_f32  v24, v12, v13 op_sel:[0,0,1]     // convert two f32 accumulated values to fp8 and save it to hi_16[16:31]
_ds_store_b32 v7, v24, offset:8                    // storeRemap lw

s_waitcnt vmcnt(5)                                 // wait C (interleaved) 5 = 8 - 2 + 0 - 1
V_cvt_pk_f32_fp8 v[12:13], v28    // convert two f8 in lo_16 to f32
_v_mac_f32 v[vgprValuC+32], v12, s[sgprBeta]       // finalSum = sum*alpha + C*beta
_v_mac_f32 v[vgprValuC+33], v13, s[sgprBeta]       // finalSum = sum*alpha + C*beta
V_cvt_pk_f32_fp8 v[12:13], v28  src0_sel:WORD_1  // convert two f8 in hi_16 to f32
_v_mac_f32 v[vgprValuC+34], v12, s[sgprBeta]       // finalSum = sum*alpha + C*beta
_v_mac_f32 v[vgprValuC+35], v13, s[sgprBeta]       // finalSum = sum*alpha + C*beta
v_cmp_class_f32 s[54:55], v[vgprValuC+32], v16     // check NaN and +/-INF
v_med3_f32 v12, v[vgprValuC+32], v14, v15          // Clipping f32 value if exceeds the limit
v_cndmask_b32 v12, v12, v[vgprValuC+32], s[54:55]  // 
v_cmp_class_f32 s[54:55], v[vgprValuC+33], v16     // check NaN and +/-INF
v_med3_f32 v13, v[vgprValuC+33], v14, v15          // Clipping f32 value if exceeds the limit
v_cndmask_b32 v13, v13, v[vgprValuC+33], s[54:55]  // 
v_cvt_pk_fp8_f32  v32, v12, v13 op_sel:[0,0,0]     // convert two f32 accumulated values to fp8 and save it to lo_16[0:15]
v_cmp_class_f32 s[54:55], v[vgprValuC+34], v16     // check NaN and +/-INF
v_med3_f32 v12, v[vgprValuC+34], v14, v15          // Clipping f32 value if exceeds the limit
v_cndmask_b32 v12, v12, v[vgprValuC+34], s[54:55]  // 
v_cmp_class_f32 s[54:55], v[vgprValuC+35], v16     // check NaN and +/-INF
v_med3_f32 v13, v[vgprValuC+35], v14, v15          // Clipping f32 value if exceeds the limit
v_cndmask_b32 v13, v13, v[vgprValuC+35], s[54:55]  // 
v_cvt_pk_fp8_f32  v32, v12, v13 op_sel:[0,0,1]     // convert two f32 accumulated values to fp8 and save it to hi_16[16:31]
_ds_store_b32 v7, v32, offset:16                   // storeRemap lw

s_waitcnt vmcnt(4)                                 // wait C (interleaved) 4 = 8 - 3 + 0 - 1
V_cvt_pk_f32_fp8 v[12:13], v29    // convert two f8 in lo_16 to f32
_v_mac_f32 v[vgprValuC+36], v12, s[sgprBeta]       // finalSum = sum*alpha + C*beta
_v_mac_f32 v[vgprValuC+37], v13, s[sgprBeta]       // finalSum = sum*alpha + C*beta
V_cvt_pk_f32_fp8 v[12:13], v29  src0_sel:WORD_1  // convert two f8 in hi_16 to f32
_v_mac_f32 v[vgprValuC+38], v12, s[sgprBeta]       // finalSum = sum*alpha + C*beta
_v_mac_f32 v[vgprValuC+39], v13, s[sgprBeta]       // finalSum = sum*alpha + C*beta
v_cmp_class_f32 s[54:55], v[vgprValuC+36], v16     // check NaN and +/-INF
v_med3_f32 v12, v[vgprValuC+36], v14, v15          // Clipping f32 value if exceeds the limit
v_cndmask_b32 v12, v12, v[vgprValuC+36], s[54:55]  // 
v_cmp_class_f32 s[54:55], v[vgprValuC+37], v16     // check NaN and +/-INF
v_med3_f32 v13, v[vgprValuC+37], v14, v15          // Clipping f32 value if exceeds the limit
v_cndmask_b32 v13, v13, v[vgprValuC+37], s[54:55]  // 
v_cvt_pk_fp8_f32  v36, v12, v13 op_sel:[0,0,0]     // convert two f32 accumulated values to fp8 and save it to lo_16[0:15]
v_cmp_class_f32 s[54:55], v[vgprValuC+38], v16     // check NaN and +/-INF
v_med3_f32 v12, v[vgprValuC+38], v14, v15          // Clipping f32 value if exceeds the limit
v_cndmask_b32 v12, v12, v[vgprValuC+38], s[54:55]  // 
v_cmp_class_f32 s[54:55], v[vgprValuC+39], v16     // check NaN and +/-INF
v_med3_f32 v13, v[vgprValuC+39], v14, v15          // Clipping f32 value if exceeds the limit
v_cndmask_b32 v13, v13, v[vgprValuC+39], s[54:55]  // 
v_cvt_pk_fp8_f32  v36, v12, v13 op_sel:[0,0,1]     // convert two f32 accumulated values to fp8 and save it to hi_16[16:31]
_ds_store_b32 v7, v36, offset:24                   // storeRemap lw

s_waitcnt vmcnt(3)                                 // wait C (interleaved) 3 = 8 - 4 + 0 - 1
V_cvt_pk_f32_fp8 v[12:13], v30    // convert two f8 in lo_16 to f32
_v_mac_f32 v[vgprValuC+40], v12, s[sgprBeta]       // finalSum = sum*alpha + C*beta
_v_mac_f32 v[vgprValuC+41], v13, s[sgprBeta]       // finalSum = sum*alpha + C*beta
V_cvt_pk_f32_fp8 v[12:13], v30  src0_sel:WORD_1  // convert two f8 in hi_16 to f32
_v_mac_f32 v[vgprValuC+42], v12, s[sgprBeta]       // finalSum = sum*alpha + C*beta
_v_mac_f32 v[vgprValuC+43], v13, s[sgprBeta]       // finalSum = sum*alpha + C*beta
v_cmp_class_f32 s[54:55], v[vgprValuC+40], v16     // check NaN and +/-INF
v_med3_f32 v12, v[vgprValuC+40], v14, v15          // Clipping f32 value if exceeds the limit
v_cndmask_b32 v12, v12, v[vgprValuC+40], s[54:55]  // 
v_cmp_class_f32 s[54:55], v[vgprValuC+41], v16     // check NaN and +/-INF
v_med3_f32 v13, v[vgprValuC+41], v14, v15          // Clipping f32 value if exceeds the limit
v_cndmask_b32 v13, v13, v[vgprValuC+41], s[54:55]  // 
v_cvt_pk_fp8_f32  v40, v12, v13 op_sel:[0,0,0]     // convert two f32 accumulated values to fp8 and save it to lo_16[0:15]
v_cmp_class_f32 s[54:55], v[vgprValuC+42], v16     // check NaN and +/-INF
v_med3_f32 v12, v[vgprValuC+42], v14, v15          // Clipping f32 value if exceeds the limit
v_cndmask_b32 v12, v12, v[vgprValuC+42], s[54:55]  // 
v_cmp_class_f32 s[54:55], v[vgprValuC+43], v16     // check NaN and +/-INF
v_med3_f32 v13, v[vgprValuC+43], v14, v15          // Clipping f32 value if exceeds the limit
v_cndmask_b32 v13, v13, v[vgprValuC+43], s[54:55]  // 
v_cvt_pk_fp8_f32  v40, v12, v13 op_sel:[0,0,1]     // convert two f32 accumulated values to fp8 and save it to hi_16[16:31]
_ds_store_b32 v7, v40, offset:128                  // storeRemap lw

s_waitcnt vmcnt(2)                                 // wait C (interleaved) 2 = 8 - 5 + 0 - 1
V_cvt_pk_f32_fp8 v[12:13], v31    // convert two f8 in lo_16 to f32
_v_mac_f32 v[vgprValuC+44], v12, s[sgprBeta]       // finalSum = sum*alpha + C*beta
_v_mac_f32 v[vgprValuC+45], v13, s[sgprBeta]       // finalSum = sum*alpha + C*beta
V_cvt_pk_f32_fp8 v[12:13], v31  src0_sel:WORD_1  // convert two f8 in hi_16 to f32
_v_mac_f32 v[vgprValuC+46], v12, s[sgprBeta]       // finalSum = sum*alpha + C*beta
_v_mac_f32 v[vgprValuC+47], v13, s[sgprBeta]       // finalSum = sum*alpha + C*beta
v_cmp_class_f32 s[54:55], v[vgprValuC+44], v16     // check NaN and +/-INF
v_med3_f32 v12, v[vgprValuC+44], v14, v15          // Clipping f32 value if exceeds the limit
v_cndmask_b32 v12, v12, v[vgprValuC+44], s[54:55]  // 
v_cmp_class_f32 s[54:55], v[vgprValuC+45], v16     // check NaN and +/-INF
v_med3_f32 v13, v[vgprValuC+45], v14, v15          // Clipping f32 value if exceeds the limit
v_cndmask_b32 v13, v13, v[vgprValuC+45], s[54:55]  // 
v_cvt_pk_fp8_f32  v44, v12, v13 op_sel:[0,0,0]     // convert two f32 accumulated values to fp8 and save it to lo_16[0:15]
v_cmp_class_f32 s[54:55], v[vgprValuC+46], v16     // check NaN and +/-INF
v_med3_f32 v12, v[vgprValuC+46], v14, v15          // Clipping f32 value if exceeds the limit
v_cndmask_b32 v12, v12, v[vgprValuC+46], s[54:55]  // 
v_cmp_class_f32 s[54:55], v[vgprValuC+47], v16     // check NaN and +/-INF
v_med3_f32 v13, v[vgprValuC+47], v14, v15          // Clipping f32 value if exceeds the limit
v_cndmask_b32 v13, v13, v[vgprValuC+47], s[54:55]  // 
v_cvt_pk_fp8_f32  v44, v12, v13 op_sel:[0,0,1]     // convert two f32 accumulated values to fp8 and save it to hi_16[16:31]
_ds_store_b32 v7, v44, offset:136                  // storeRemap lw

s_waitcnt vmcnt(1)                                 // wait C (interleaved) 1 = 8 - 6 + 0 - 1
V_cvt_pk_f32_fp8 v[12:13], v48    // convert two f8 in lo_16 to f32
_v_mac_f32 v[vgprValuC+52], v12, s[sgprBeta]       // finalSum = sum*alpha + C*beta
_v_mac_f32 v[vgprValuC+53], v13, s[sgprBeta]       // finalSum = sum*alpha + C*beta
V_cvt_pk_f32_fp8 v[12:13], v48  src0_sel:WORD_1  // convert two f8 in hi_16 to f32
_v_mac_f32 v[vgprValuC+54], v12, s[sgprBeta]       // finalSum = sum*alpha + C*beta
_v_mac_f32 v[vgprValuC+55], v13, s[sgprBeta]       // finalSum = sum*alpha + C*beta
v_cmp_class_f32 s[54:55], v[vgprValuC+52], v16     // check NaN and +/-INF
v_med3_f32 v12, v[vgprValuC+52], v14, v15          // Clipping f32 value if exceeds the limit
v_cndmask_b32 v12, v12, v[vgprValuC+52], s[54:55]  // 
v_cmp_class_f32 s[54:55], v[vgprValuC+53], v16     // check NaN and +/-INF
v_med3_f32 v13, v[vgprValuC+53], v14, v15          // Clipping f32 value if exceeds the limit
v_cndmask_b32 v13, v13, v[vgprValuC+53], s[54:55]  // 
v_cvt_pk_fp8_f32  v52, v12, v13 op_sel:[0,0,0]     // convert two f32 accumulated values to fp8 and save it to lo_16[0:15]
v_cmp_class_f32 s[54:55], v[vgprValuC+54], v16     // check NaN and +/-INF
v_med3_f32 v12, v[vgprValuC+54], v14, v15          // Clipping f32 value if exceeds the limit
v_cndmask_b32 v12, v12, v[vgprValuC+54], s[54:55]  // 
v_cmp_class_f32 s[54:55], v[vgprValuC+55], v16     // check NaN and +/-INF
v_med3_f32 v13, v[vgprValuC+55], v14, v15          // Clipping f32 value if exceeds the limit
v_cndmask_b32 v13, v13, v[vgprValuC+55], s[54:55]  // 
v_cvt_pk_fp8_f32  v52, v12, v13 op_sel:[0,0,1]     // convert two f32 accumulated values to fp8 and save it to hi_16[16:31]
_ds_store_b32 v7, v52, offset:144                  // storeRemap lw

s_waitcnt vmcnt(0)                                 // wait C (interleaved) 0 = 8 - 7 + 0 - 1
V_cvt_pk_f32_fp8 v[12:13], v49    // convert two f8 in lo_16 to f32
_v_mac_f32 v[vgprValuC+56], v12, s[sgprBeta]       // finalSum = sum*alpha + C*beta
_v_mac_f32 v[vgprValuC+57], v13, s[sgprBeta]       // finalSum = sum*alpha + C*beta
V_cvt_pk_f32_fp8 v[12:13], v49  src0_sel:WORD_1  // convert two f8 in hi_16 to f32
_v_mac_f32 v[vgprValuC+58], v12, s[sgprBeta]       // finalSum = sum*alpha + C*beta
_v_mac_f32 v[vgprValuC+59], v13, s[sgprBeta]       // finalSum = sum*alpha + C*beta
v_cmp_class_f32 s[54:55], v[vgprValuC+56], v16     // check NaN and +/-INF
v_med3_f32 v12, v[vgprValuC+56], v14, v15          // Clipping f32 value if exceeds the limit
v_cndmask_b32 v12, v12, v[vgprValuC+56], s[54:55]  // 
v_cmp_class_f32 s[54:55], v[vgprValuC+57], v16     // check NaN and +/-INF
v_med3_f32 v13, v[vgprValuC+57], v14, v15          // Clipping f32 value if exceeds the limit
v_cndmask_b32 v13, v13, v[vgprValuC+57], s[54:55]  // 
v_cvt_pk_fp8_f32  v56, v12, v13 op_sel:[0,0,0]     // convert two f32 accumulated values to fp8 and save it to lo_16[0:15]
v_cmp_class_f32 s[54:55], v[vgprValuC+58], v16     // check NaN and +/-INF
v_med3_f32 v12, v[vgprValuC+58], v14, v15          // Clipping f32 value if exceeds the limit
v_cndmask_b32 v12, v12, v[vgprValuC+58], s[54:55]  // 
v_cmp_class_f32 s[54:55], v[vgprValuC+59], v16     // check NaN and +/-INF
v_med3_f32 v13, v[vgprValuC+59], v14, v15          // Clipping f32 value if exceeds the limit
v_cndmask_b32 v13, v13, v[vgprValuC+59], s[54:55]  // 
v_cvt_pk_fp8_f32  v56, v12, v13 op_sel:[0,0,1]     // convert two f32 accumulated values to fp8 and save it to hi_16[16:31]
_ds_store_b32 v7, v56, offset:152                  // storeRemap lw

/* Handle local read and global write */
s_waitcnt lgkmcnt(0)                               // wait for LDS write
s_barrier //wait all lds write finished

_ds_load_b128 v[20:23], v8, offset:0               // storeRemap lr
_ds_load_b128 v[24:27], v8, offset:1088            // storeRemap lr

v_mov_b32 v18, v6                                  // coord1
v_mul_lo_u32 v18, v18, s[sgprStrideD1J]            // coord1 offset =  coord1 * StrideD
_v_add_lshl_u32 v18, v18, v4, 0x0                  // global write D address
s_waitcnt lgkmcnt(1)                               // wait for LDS read
_buffer_store_b128 v[20:23], v18, s[sgprSrdD:sgprSrdD+3], 0, offen, offset:0 // store D
_v_add_u32 v18, v6, 4                              // coord1 += nColPerLoad
v_mul_lo_u32 v18, v18, s[sgprStrideD1J]            // coord1 offset =  coord1 * StrideD
_v_add_lshl_u32 v18, v18, v4, 0x0                  // global write D address
s_waitcnt lgkmcnt(0)                               // wait for LDS read
_buffer_store_b128 v[24:27], v18, s[sgprSrdD:sgprSrdD+3], 0, offen, offset:0 // store D

s_barrier //wait all lds read finished
s_nop 0                                            // 1 wait state required when next inst writes vgprs held by previous dwordx4 store inst
/* optSingleColVgpr=1 optSharedColVgpr=0 optSGPRUsage=BufferLoad_Mask optSrdIncForRow=1 */

/******************************************/
/* Global Write Alpha Beta Batch #5 (d1,d0,vc1,vc0) = */
/*    (5,0,0,0:vw4); (5,1,0,0:vw4); (5,2,0,0:vw4); (5,3,0,0:vw4); (5,4,0,0:vw4); (5,5,0,0:vw4); (5,6,0,0:vw4); (5,7,0,0:vw4) */
/******************************************/

/* calc coords, apply mask, and issue loads (if necessary) */
/* (d1,vc1,d0,vc0)=(5,0,0,0) */
s_mul_i32 s54, s[sgprStrideC1J], 32                // scale StrideC *= numRows(32) * bpe
s_add_u32  s[sgprSrdC+0], s[sgprSrdC+0], s54       // incToNextRow: gra SRD += inc(lower)
s_addc_u32  s[sgprSrdC+1], s[sgprSrdC+1], 0        // incToNextRow: gra SRD += inc(upper)
_buffer_load_b32 v18, v17, s[sgprSrdC:sgprSrdC+3], 0, offen offset:0 // load C for beta calc
/* (d1,vc1,d0,vc0)=(5,0,1,0) */
_buffer_load_b32 v19, v17, s[sgprSrdC:sgprSrdC+3], 0, offen offset:8 // load C for beta calc
/* (d1,vc1,d0,vc0)=(5,0,2,0) */
	;; [unrolled: 2-line block ×7, first 2 shown]
_buffer_load_b32 v49, v17, s[sgprSrdC:sgprSrdC+3], 0, offen offset:152 // load C for beta calc
v_accvgpr_read_b32 v[vgprValuC+20], acc160 // copy acc to vreg[160]
v_accvgpr_read_b32 v[vgprValuC+21], acc161 // copy acc to vreg[161]
v_accvgpr_read_b32 v[vgprValuC+22], acc162 // copy acc to vreg[162]
v_accvgpr_read_b32 v[vgprValuC+23], acc163 // copy acc to vreg[163]
v_accvgpr_read_b32 v[vgprValuC+24], acc164 // copy acc to vreg[164]
v_accvgpr_read_b32 v[vgprValuC+25], acc165 // copy acc to vreg[165]
v_accvgpr_read_b32 v[vgprValuC+26], acc166 // copy acc to vreg[166]
v_accvgpr_read_b32 v[vgprValuC+27], acc167 // copy acc to vreg[167]
v_accvgpr_read_b32 v[vgprValuC+32], acc168 // copy acc to vreg[168]
v_accvgpr_read_b32 v[vgprValuC+33], acc169 // copy acc to vreg[169]
v_accvgpr_read_b32 v[vgprValuC+34], acc170 // copy acc to vreg[170]
v_accvgpr_read_b32 v[vgprValuC+35], acc171 // copy acc to vreg[171]
v_accvgpr_read_b32 v[vgprValuC+36], acc172 // copy acc to vreg[172]
v_accvgpr_read_b32 v[vgprValuC+37], acc173 // copy acc to vreg[173]
v_accvgpr_read_b32 v[vgprValuC+38], acc174 // copy acc to vreg[174]
v_accvgpr_read_b32 v[vgprValuC+39], acc175 // copy acc to vreg[175]
v_accvgpr_read_b32 v[vgprValuC+40], acc176 // copy acc to vreg[176]
v_accvgpr_read_b32 v[vgprValuC+41], acc177 // copy acc to vreg[177]
v_accvgpr_read_b32 v[vgprValuC+42], acc178 // copy acc to vreg[178]
v_accvgpr_read_b32 v[vgprValuC+43], acc179 // copy acc to vreg[179]
v_accvgpr_read_b32 v[vgprValuC+44], acc180 // copy acc to vreg[180]
v_accvgpr_read_b32 v[vgprValuC+45], acc181 // copy acc to vreg[181]
v_accvgpr_read_b32 v[vgprValuC+46], acc182 // copy acc to vreg[182]
v_accvgpr_read_b32 v[vgprValuC+47], acc183 // copy acc to vreg[183]
v_accvgpr_read_b32 v[vgprValuC+52], acc184 // copy acc to vreg[184]
v_accvgpr_read_b32 v[vgprValuC+53], acc185 // copy acc to vreg[185]
v_accvgpr_read_b32 v[vgprValuC+54], acc186 // copy acc to vreg[186]
v_accvgpr_read_b32 v[vgprValuC+55], acc187 // copy acc to vreg[187]
v_accvgpr_read_b32 v[vgprValuC+56], acc188 // copy acc to vreg[188]
v_accvgpr_read_b32 v[vgprValuC+57], acc189 // copy acc to vreg[189]
v_accvgpr_read_b32 v[vgprValuC+58], acc190 // copy acc to vreg[190]
v_accvgpr_read_b32 v[vgprValuC+59], acc191 // copy acc to vreg[191]
s_nop 1                                            // 2 wait states required before reading vgpr

/* rC *= alpha batchElements=[(5, 0, 0, 0), (5, 1, 0, 0), (5, 2, 0, 0), (5, 3, 0, 0), (5, 4, 0, 0), (5, 5, 0, 0), (5, 6, 0, 0), (5, 7, 0, 0)] */
v_mul_f32 v[vgprValuC+20], s[sgprAlpha], v[vgprValuC+20] // *= alpha
v_mul_f32 v[vgprValuC+21], s[sgprAlpha], v[vgprValuC+21] // *= alpha
v_mul_f32 v[vgprValuC+22], s[sgprAlpha], v[vgprValuC+22] // *= alpha
v_mul_f32 v[vgprValuC+23], s[sgprAlpha], v[vgprValuC+23] // *= alpha
v_mul_f32 v[vgprValuC+24], s[sgprAlpha], v[vgprValuC+24] // *= alpha
v_mul_f32 v[vgprValuC+25], s[sgprAlpha], v[vgprValuC+25] // *= alpha
v_mul_f32 v[vgprValuC+26], s[sgprAlpha], v[vgprValuC+26] // *= alpha
v_mul_f32 v[vgprValuC+27], s[sgprAlpha], v[vgprValuC+27] // *= alpha
v_mul_f32 v[vgprValuC+32], s[sgprAlpha], v[vgprValuC+32] // *= alpha
v_mul_f32 v[vgprValuC+33], s[sgprAlpha], v[vgprValuC+33] // *= alpha
v_mul_f32 v[vgprValuC+34], s[sgprAlpha], v[vgprValuC+34] // *= alpha
v_mul_f32 v[vgprValuC+35], s[sgprAlpha], v[vgprValuC+35] // *= alpha
v_mul_f32 v[vgprValuC+36], s[sgprAlpha], v[vgprValuC+36] // *= alpha
v_mul_f32 v[vgprValuC+37], s[sgprAlpha], v[vgprValuC+37] // *= alpha
v_mul_f32 v[vgprValuC+38], s[sgprAlpha], v[vgprValuC+38] // *= alpha
v_mul_f32 v[vgprValuC+39], s[sgprAlpha], v[vgprValuC+39] // *= alpha
v_mul_f32 v[vgprValuC+40], s[sgprAlpha], v[vgprValuC+40] // *= alpha
v_mul_f32 v[vgprValuC+41], s[sgprAlpha], v[vgprValuC+41] // *= alpha
v_mul_f32 v[vgprValuC+42], s[sgprAlpha], v[vgprValuC+42] // *= alpha
v_mul_f32 v[vgprValuC+43], s[sgprAlpha], v[vgprValuC+43] // *= alpha
v_mul_f32 v[vgprValuC+44], s[sgprAlpha], v[vgprValuC+44] // *= alpha
v_mul_f32 v[vgprValuC+45], s[sgprAlpha], v[vgprValuC+45] // *= alpha
v_mul_f32 v[vgprValuC+46], s[sgprAlpha], v[vgprValuC+46] // *= alpha
v_mul_f32 v[vgprValuC+47], s[sgprAlpha], v[vgprValuC+47] // *= alpha
v_mul_f32 v[vgprValuC+52], s[sgprAlpha], v[vgprValuC+52] // *= alpha
v_mul_f32 v[vgprValuC+53], s[sgprAlpha], v[vgprValuC+53] // *= alpha
v_mul_f32 v[vgprValuC+54], s[sgprAlpha], v[vgprValuC+54] // *= alpha
v_mul_f32 v[vgprValuC+55], s[sgprAlpha], v[vgprValuC+55] // *= alpha
v_mul_f32 v[vgprValuC+56], s[sgprAlpha], v[vgprValuC+56] // *= alpha
v_mul_f32 v[vgprValuC+57], s[sgprAlpha], v[vgprValuC+57] // *= alpha
v_mul_f32 v[vgprValuC+58], s[sgprAlpha], v[vgprValuC+58] // *= alpha
v_mul_f32 v[vgprValuC+59], s[sgprAlpha], v[vgprValuC+59] // *= alpha

/* apply mask, calc new C and issue writes */
v_mov_b32 v16, 0x207                               // flag for Nan and +/- inf
v_mov_b32 v14, 0x43700000                          // save 240.0f as max for clipping
v_mov_b32 v15, 0xC3700000                          // save -240.0f as min for clipping

/* StoreRemap: shift coord1 address */
s_mul_i32 s54, s[sgprStrideD1J], 32                // scale StrideD *= numRows(32) * bpe
s_add_u32  s[sgprSrdD+0], s[sgprSrdD+0], s54       // incToNextRow: gra SRD += inc(lower)
s_addc_u32  s[sgprSrdD+1], s[sgprSrdD+1], 0        // incToNextRow: gra SRD += inc(upper)
v_mov_b32 v10, 32                                  // set shift rows
_v_add_u32 v5, v5, v10                             // shift storeRemap coord1

s_waitcnt vmcnt(7)                                 // wait C (interleaved) 7 = 8 - 0 + 0 - 1
V_cvt_pk_f32_fp8 v[12:13], v18    // convert two f8 in lo_16 to f32
_v_mac_f32 v[vgprValuC+20], v12, s[sgprBeta]       // finalSum = sum*alpha + C*beta
_v_mac_f32 v[vgprValuC+21], v13, s[sgprBeta]       // finalSum = sum*alpha + C*beta
V_cvt_pk_f32_fp8 v[12:13], v18  src0_sel:WORD_1  // convert two f8 in hi_16 to f32
_v_mac_f32 v[vgprValuC+22], v12, s[sgprBeta]       // finalSum = sum*alpha + C*beta
_v_mac_f32 v[vgprValuC+23], v13, s[sgprBeta]       // finalSum = sum*alpha + C*beta
v_cmp_class_f32 s[54:55], v[vgprValuC+20], v16     // check NaN and +/-INF
v_med3_f32 v12, v[vgprValuC+20], v14, v15          // Clipping f32 value if exceeds the limit
v_cndmask_b32 v12, v12, v[vgprValuC+20], s[54:55]  // 
v_cmp_class_f32 s[54:55], v[vgprValuC+21], v16     // check NaN and +/-INF
v_med3_f32 v13, v[vgprValuC+21], v14, v15          // Clipping f32 value if exceeds the limit
v_cndmask_b32 v13, v13, v[vgprValuC+21], s[54:55]  // 
v_cvt_pk_fp8_f32  v20, v12, v13 op_sel:[0,0,0]     // convert two f32 accumulated values to fp8 and save it to lo_16[0:15]
v_cmp_class_f32 s[54:55], v[vgprValuC+22], v16     // check NaN and +/-INF
v_med3_f32 v12, v[vgprValuC+22], v14, v15          // Clipping f32 value if exceeds the limit
v_cndmask_b32 v12, v12, v[vgprValuC+22], s[54:55]  // 
v_cmp_class_f32 s[54:55], v[vgprValuC+23], v16     // check NaN and +/-INF
v_med3_f32 v13, v[vgprValuC+23], v14, v15          // Clipping f32 value if exceeds the limit
v_cndmask_b32 v13, v13, v[vgprValuC+23], s[54:55]  // 
v_cvt_pk_fp8_f32  v20, v12, v13 op_sel:[0,0,1]     // convert two f32 accumulated values to fp8 and save it to hi_16[16:31]
_ds_store_b32 v7, v20, offset:0                    // storeRemap lw

s_waitcnt vmcnt(6)                                 // wait C (interleaved) 6 = 8 - 1 + 0 - 1
V_cvt_pk_f32_fp8 v[12:13], v19    // convert two f8 in lo_16 to f32
_v_mac_f32 v[vgprValuC+24], v12, s[sgprBeta]       // finalSum = sum*alpha + C*beta
_v_mac_f32 v[vgprValuC+25], v13, s[sgprBeta]       // finalSum = sum*alpha + C*beta
V_cvt_pk_f32_fp8 v[12:13], v19  src0_sel:WORD_1  // convert two f8 in hi_16 to f32
_v_mac_f32 v[vgprValuC+26], v12, s[sgprBeta]       // finalSum = sum*alpha + C*beta
_v_mac_f32 v[vgprValuC+27], v13, s[sgprBeta]       // finalSum = sum*alpha + C*beta
v_cmp_class_f32 s[54:55], v[vgprValuC+24], v16     // check NaN and +/-INF
v_med3_f32 v12, v[vgprValuC+24], v14, v15          // Clipping f32 value if exceeds the limit
v_cndmask_b32 v12, v12, v[vgprValuC+24], s[54:55]  // 
v_cmp_class_f32 s[54:55], v[vgprValuC+25], v16     // check NaN and +/-INF
v_med3_f32 v13, v[vgprValuC+25], v14, v15          // Clipping f32 value if exceeds the limit
v_cndmask_b32 v13, v13, v[vgprValuC+25], s[54:55]  // 
v_cvt_pk_fp8_f32  v24, v12, v13 op_sel:[0,0,0]     // convert two f32 accumulated values to fp8 and save it to lo_16[0:15]
v_cmp_class_f32 s[54:55], v[vgprValuC+26], v16     // check NaN and +/-INF
v_med3_f32 v12, v[vgprValuC+26], v14, v15          // Clipping f32 value if exceeds the limit
v_cndmask_b32 v12, v12, v[vgprValuC+26], s[54:55]  // 
v_cmp_class_f32 s[54:55], v[vgprValuC+27], v16     // check NaN and +/-INF
v_med3_f32 v13, v[vgprValuC+27], v14, v15          // Clipping f32 value if exceeds the limit
v_cndmask_b32 v13, v13, v[vgprValuC+27], s[54:55]  // 
v_cvt_pk_fp8_f32  v24, v12, v13 op_sel:[0,0,1]     // convert two f32 accumulated values to fp8 and save it to hi_16[16:31]
_ds_store_b32 v7, v24, offset:8                    // storeRemap lw

s_waitcnt vmcnt(5)                                 // wait C (interleaved) 5 = 8 - 2 + 0 - 1
V_cvt_pk_f32_fp8 v[12:13], v28    // convert two f8 in lo_16 to f32
_v_mac_f32 v[vgprValuC+32], v12, s[sgprBeta]       // finalSum = sum*alpha + C*beta
_v_mac_f32 v[vgprValuC+33], v13, s[sgprBeta]       // finalSum = sum*alpha + C*beta
V_cvt_pk_f32_fp8 v[12:13], v28  src0_sel:WORD_1  // convert two f8 in hi_16 to f32
_v_mac_f32 v[vgprValuC+34], v12, s[sgprBeta]       // finalSum = sum*alpha + C*beta
_v_mac_f32 v[vgprValuC+35], v13, s[sgprBeta]       // finalSum = sum*alpha + C*beta
v_cmp_class_f32 s[54:55], v[vgprValuC+32], v16     // check NaN and +/-INF
v_med3_f32 v12, v[vgprValuC+32], v14, v15          // Clipping f32 value if exceeds the limit
v_cndmask_b32 v12, v12, v[vgprValuC+32], s[54:55]  // 
v_cmp_class_f32 s[54:55], v[vgprValuC+33], v16     // check NaN and +/-INF
v_med3_f32 v13, v[vgprValuC+33], v14, v15          // Clipping f32 value if exceeds the limit
v_cndmask_b32 v13, v13, v[vgprValuC+33], s[54:55]  // 
v_cvt_pk_fp8_f32  v32, v12, v13 op_sel:[0,0,0]     // convert two f32 accumulated values to fp8 and save it to lo_16[0:15]
v_cmp_class_f32 s[54:55], v[vgprValuC+34], v16     // check NaN and +/-INF
v_med3_f32 v12, v[vgprValuC+34], v14, v15          // Clipping f32 value if exceeds the limit
v_cndmask_b32 v12, v12, v[vgprValuC+34], s[54:55]  // 
v_cmp_class_f32 s[54:55], v[vgprValuC+35], v16     // check NaN and +/-INF
v_med3_f32 v13, v[vgprValuC+35], v14, v15          // Clipping f32 value if exceeds the limit
v_cndmask_b32 v13, v13, v[vgprValuC+35], s[54:55]  // 
v_cvt_pk_fp8_f32  v32, v12, v13 op_sel:[0,0,1]     // convert two f32 accumulated values to fp8 and save it to hi_16[16:31]
_ds_store_b32 v7, v32, offset:16                   // storeRemap lw

s_waitcnt vmcnt(4)                                 // wait C (interleaved) 4 = 8 - 3 + 0 - 1
V_cvt_pk_f32_fp8 v[12:13], v29    // convert two f8 in lo_16 to f32
_v_mac_f32 v[vgprValuC+36], v12, s[sgprBeta]       // finalSum = sum*alpha + C*beta
_v_mac_f32 v[vgprValuC+37], v13, s[sgprBeta]       // finalSum = sum*alpha + C*beta
V_cvt_pk_f32_fp8 v[12:13], v29  src0_sel:WORD_1  // convert two f8 in hi_16 to f32
_v_mac_f32 v[vgprValuC+38], v12, s[sgprBeta]       // finalSum = sum*alpha + C*beta
_v_mac_f32 v[vgprValuC+39], v13, s[sgprBeta]       // finalSum = sum*alpha + C*beta
v_cmp_class_f32 s[54:55], v[vgprValuC+36], v16     // check NaN and +/-INF
v_med3_f32 v12, v[vgprValuC+36], v14, v15          // Clipping f32 value if exceeds the limit
v_cndmask_b32 v12, v12, v[vgprValuC+36], s[54:55]  // 
v_cmp_class_f32 s[54:55], v[vgprValuC+37], v16     // check NaN and +/-INF
v_med3_f32 v13, v[vgprValuC+37], v14, v15          // Clipping f32 value if exceeds the limit
v_cndmask_b32 v13, v13, v[vgprValuC+37], s[54:55]  // 
v_cvt_pk_fp8_f32  v36, v12, v13 op_sel:[0,0,0]     // convert two f32 accumulated values to fp8 and save it to lo_16[0:15]
v_cmp_class_f32 s[54:55], v[vgprValuC+38], v16     // check NaN and +/-INF
v_med3_f32 v12, v[vgprValuC+38], v14, v15          // Clipping f32 value if exceeds the limit
v_cndmask_b32 v12, v12, v[vgprValuC+38], s[54:55]  // 
v_cmp_class_f32 s[54:55], v[vgprValuC+39], v16     // check NaN and +/-INF
v_med3_f32 v13, v[vgprValuC+39], v14, v15          // Clipping f32 value if exceeds the limit
v_cndmask_b32 v13, v13, v[vgprValuC+39], s[54:55]  // 
v_cvt_pk_fp8_f32  v36, v12, v13 op_sel:[0,0,1]     // convert two f32 accumulated values to fp8 and save it to hi_16[16:31]
_ds_store_b32 v7, v36, offset:24                   // storeRemap lw

s_waitcnt vmcnt(3)                                 // wait C (interleaved) 3 = 8 - 4 + 0 - 1
V_cvt_pk_f32_fp8 v[12:13], v30    // convert two f8 in lo_16 to f32
_v_mac_f32 v[vgprValuC+40], v12, s[sgprBeta]       // finalSum = sum*alpha + C*beta
_v_mac_f32 v[vgprValuC+41], v13, s[sgprBeta]       // finalSum = sum*alpha + C*beta
V_cvt_pk_f32_fp8 v[12:13], v30  src0_sel:WORD_1  // convert two f8 in hi_16 to f32
_v_mac_f32 v[vgprValuC+42], v12, s[sgprBeta]       // finalSum = sum*alpha + C*beta
_v_mac_f32 v[vgprValuC+43], v13, s[sgprBeta]       // finalSum = sum*alpha + C*beta
v_cmp_class_f32 s[54:55], v[vgprValuC+40], v16     // check NaN and +/-INF
v_med3_f32 v12, v[vgprValuC+40], v14, v15          // Clipping f32 value if exceeds the limit
v_cndmask_b32 v12, v12, v[vgprValuC+40], s[54:55]  // 
v_cmp_class_f32 s[54:55], v[vgprValuC+41], v16     // check NaN and +/-INF
v_med3_f32 v13, v[vgprValuC+41], v14, v15          // Clipping f32 value if exceeds the limit
v_cndmask_b32 v13, v13, v[vgprValuC+41], s[54:55]  // 
v_cvt_pk_fp8_f32  v40, v12, v13 op_sel:[0,0,0]     // convert two f32 accumulated values to fp8 and save it to lo_16[0:15]
v_cmp_class_f32 s[54:55], v[vgprValuC+42], v16     // check NaN and +/-INF
v_med3_f32 v12, v[vgprValuC+42], v14, v15          // Clipping f32 value if exceeds the limit
v_cndmask_b32 v12, v12, v[vgprValuC+42], s[54:55]  // 
v_cmp_class_f32 s[54:55], v[vgprValuC+43], v16     // check NaN and +/-INF
v_med3_f32 v13, v[vgprValuC+43], v14, v15          // Clipping f32 value if exceeds the limit
v_cndmask_b32 v13, v13, v[vgprValuC+43], s[54:55]  // 
v_cvt_pk_fp8_f32  v40, v12, v13 op_sel:[0,0,1]     // convert two f32 accumulated values to fp8 and save it to hi_16[16:31]
_ds_store_b32 v7, v40, offset:128                  // storeRemap lw

s_waitcnt vmcnt(2)                                 // wait C (interleaved) 2 = 8 - 5 + 0 - 1
V_cvt_pk_f32_fp8 v[12:13], v31    // convert two f8 in lo_16 to f32
_v_mac_f32 v[vgprValuC+44], v12, s[sgprBeta]       // finalSum = sum*alpha + C*beta
_v_mac_f32 v[vgprValuC+45], v13, s[sgprBeta]       // finalSum = sum*alpha + C*beta
V_cvt_pk_f32_fp8 v[12:13], v31  src0_sel:WORD_1  // convert two f8 in hi_16 to f32
_v_mac_f32 v[vgprValuC+46], v12, s[sgprBeta]       // finalSum = sum*alpha + C*beta
_v_mac_f32 v[vgprValuC+47], v13, s[sgprBeta]       // finalSum = sum*alpha + C*beta
v_cmp_class_f32 s[54:55], v[vgprValuC+44], v16     // check NaN and +/-INF
v_med3_f32 v12, v[vgprValuC+44], v14, v15          // Clipping f32 value if exceeds the limit
v_cndmask_b32 v12, v12, v[vgprValuC+44], s[54:55]  // 
v_cmp_class_f32 s[54:55], v[vgprValuC+45], v16     // check NaN and +/-INF
v_med3_f32 v13, v[vgprValuC+45], v14, v15          // Clipping f32 value if exceeds the limit
v_cndmask_b32 v13, v13, v[vgprValuC+45], s[54:55]  // 
v_cvt_pk_fp8_f32  v44, v12, v13 op_sel:[0,0,0]     // convert two f32 accumulated values to fp8 and save it to lo_16[0:15]
v_cmp_class_f32 s[54:55], v[vgprValuC+46], v16     // check NaN and +/-INF
v_med3_f32 v12, v[vgprValuC+46], v14, v15          // Clipping f32 value if exceeds the limit
v_cndmask_b32 v12, v12, v[vgprValuC+46], s[54:55]  // 
v_cmp_class_f32 s[54:55], v[vgprValuC+47], v16     // check NaN and +/-INF
v_med3_f32 v13, v[vgprValuC+47], v14, v15          // Clipping f32 value if exceeds the limit
v_cndmask_b32 v13, v13, v[vgprValuC+47], s[54:55]  // 
v_cvt_pk_fp8_f32  v44, v12, v13 op_sel:[0,0,1]     // convert two f32 accumulated values to fp8 and save it to hi_16[16:31]
_ds_store_b32 v7, v44, offset:136                  // storeRemap lw
	;; [unrolled: 23-line block ×4, first 2 shown]

/* Handle local read and global write */
s_waitcnt lgkmcnt(0)                               // wait for LDS write
s_barrier //wait all lds write finished

_ds_load_b128 v[20:23], v8, offset:0               // storeRemap lr
_ds_load_b128 v[24:27], v8, offset:1088            // storeRemap lr

v_mov_b32 v18, v6                                  // coord1
v_mul_lo_u32 v18, v18, s[sgprStrideD1J]            // coord1 offset =  coord1 * StrideD
_v_add_lshl_u32 v18, v18, v4, 0x0                  // global write D address
s_waitcnt lgkmcnt(1)                               // wait for LDS read
_buffer_store_b128 v[20:23], v18, s[sgprSrdD:sgprSrdD+3], 0, offen, offset:0 // store D
_v_add_u32 v18, v6, 4                              // coord1 += nColPerLoad
v_mul_lo_u32 v18, v18, s[sgprStrideD1J]            // coord1 offset =  coord1 * StrideD
_v_add_lshl_u32 v18, v18, v4, 0x0                  // global write D address
s_waitcnt lgkmcnt(0)                               // wait for LDS read
_buffer_store_b128 v[24:27], v18, s[sgprSrdD:sgprSrdD+3], 0, offen, offset:0 // store D

s_barrier //wait all lds read finished
s_nop 0                                            // 1 wait state required when next inst writes vgprs held by previous dwordx4 store inst
/* optSingleColVgpr=1 optSharedColVgpr=0 optSGPRUsage=BufferLoad_Mask optSrdIncForRow=1 */

/******************************************/
/* Global Write Alpha Beta Batch #6 (d1,d0,vc1,vc0) = */
/*    (6,0,0,0:vw4); (6,1,0,0:vw4); (6,2,0,0:vw4); (6,3,0,0:vw4); (6,4,0,0:vw4); (6,5,0,0:vw4); (6,6,0,0:vw4); (6,7,0,0:vw4) */
/******************************************/

/* calc coords, apply mask, and issue loads (if necessary) */
/* (d1,vc1,d0,vc0)=(6,0,0,0) */
s_mul_i32 s54, s[sgprStrideC1J], 32                // scale StrideC *= numRows(32) * bpe
s_add_u32  s[sgprSrdC+0], s[sgprSrdC+0], s54       // incToNextRow: gra SRD += inc(lower)
s_addc_u32  s[sgprSrdC+1], s[sgprSrdC+1], 0        // incToNextRow: gra SRD += inc(upper)
_buffer_load_b32 v18, v17, s[sgprSrdC:sgprSrdC+3], 0, offen offset:0 // load C for beta calc
/* (d1,vc1,d0,vc0)=(6,0,1,0) */
_buffer_load_b32 v19, v17, s[sgprSrdC:sgprSrdC+3], 0, offen offset:8 // load C for beta calc
/* (d1,vc1,d0,vc0)=(6,0,2,0) */
	;; [unrolled: 2-line block ×7, first 2 shown]
_buffer_load_b32 v49, v17, s[sgprSrdC:sgprSrdC+3], 0, offen offset:152 // load C for beta calc
v_accvgpr_read_b32 v[vgprValuC+20], acc192 // copy acc to vreg[192]
v_accvgpr_read_b32 v[vgprValuC+21], acc193 // copy acc to vreg[193]
v_accvgpr_read_b32 v[vgprValuC+22], acc194 // copy acc to vreg[194]
v_accvgpr_read_b32 v[vgprValuC+23], acc195 // copy acc to vreg[195]
v_accvgpr_read_b32 v[vgprValuC+24], acc196 // copy acc to vreg[196]
v_accvgpr_read_b32 v[vgprValuC+25], acc197 // copy acc to vreg[197]
v_accvgpr_read_b32 v[vgprValuC+26], acc198 // copy acc to vreg[198]
v_accvgpr_read_b32 v[vgprValuC+27], acc199 // copy acc to vreg[199]
v_accvgpr_read_b32 v[vgprValuC+32], acc200 // copy acc to vreg[200]
v_accvgpr_read_b32 v[vgprValuC+33], acc201 // copy acc to vreg[201]
v_accvgpr_read_b32 v[vgprValuC+34], acc202 // copy acc to vreg[202]
v_accvgpr_read_b32 v[vgprValuC+35], acc203 // copy acc to vreg[203]
v_accvgpr_read_b32 v[vgprValuC+36], acc204 // copy acc to vreg[204]
v_accvgpr_read_b32 v[vgprValuC+37], acc205 // copy acc to vreg[205]
v_accvgpr_read_b32 v[vgprValuC+38], acc206 // copy acc to vreg[206]
v_accvgpr_read_b32 v[vgprValuC+39], acc207 // copy acc to vreg[207]
v_accvgpr_read_b32 v[vgprValuC+40], acc208 // copy acc to vreg[208]
v_accvgpr_read_b32 v[vgprValuC+41], acc209 // copy acc to vreg[209]
v_accvgpr_read_b32 v[vgprValuC+42], acc210 // copy acc to vreg[210]
v_accvgpr_read_b32 v[vgprValuC+43], acc211 // copy acc to vreg[211]
v_accvgpr_read_b32 v[vgprValuC+44], acc212 // copy acc to vreg[212]
v_accvgpr_read_b32 v[vgprValuC+45], acc213 // copy acc to vreg[213]
v_accvgpr_read_b32 v[vgprValuC+46], acc214 // copy acc to vreg[214]
v_accvgpr_read_b32 v[vgprValuC+47], acc215 // copy acc to vreg[215]
v_accvgpr_read_b32 v[vgprValuC+52], acc216 // copy acc to vreg[216]
v_accvgpr_read_b32 v[vgprValuC+53], acc217 // copy acc to vreg[217]
v_accvgpr_read_b32 v[vgprValuC+54], acc218 // copy acc to vreg[218]
v_accvgpr_read_b32 v[vgprValuC+55], acc219 // copy acc to vreg[219]
v_accvgpr_read_b32 v[vgprValuC+56], acc220 // copy acc to vreg[220]
v_accvgpr_read_b32 v[vgprValuC+57], acc221 // copy acc to vreg[221]
v_accvgpr_read_b32 v[vgprValuC+58], acc222 // copy acc to vreg[222]
v_accvgpr_read_b32 v[vgprValuC+59], acc223 // copy acc to vreg[223]
s_nop 1                                            // 2 wait states required before reading vgpr

/* rC *= alpha batchElements=[(6, 0, 0, 0), (6, 1, 0, 0), (6, 2, 0, 0), (6, 3, 0, 0), (6, 4, 0, 0), (6, 5, 0, 0), (6, 6, 0, 0), (6, 7, 0, 0)] */
v_mul_f32 v[vgprValuC+20], s[sgprAlpha], v[vgprValuC+20] // *= alpha
v_mul_f32 v[vgprValuC+21], s[sgprAlpha], v[vgprValuC+21] // *= alpha
	;; [unrolled: 1-line block ×32, first 2 shown]

/* apply mask, calc new C and issue writes */
v_mov_b32 v16, 0x207                               // flag for Nan and +/- inf
v_mov_b32 v14, 0x43700000                          // save 240.0f as max for clipping
v_mov_b32 v15, 0xC3700000                          // save -240.0f as min for clipping

/* StoreRemap: shift coord1 address */
s_mul_i32 s54, s[sgprStrideD1J], 32                // scale StrideD *= numRows(32) * bpe
s_add_u32  s[sgprSrdD+0], s[sgprSrdD+0], s54       // incToNextRow: gra SRD += inc(lower)
s_addc_u32  s[sgprSrdD+1], s[sgprSrdD+1], 0        // incToNextRow: gra SRD += inc(upper)
v_mov_b32 v10, 32                                  // set shift rows
_v_add_u32 v5, v5, v10                             // shift storeRemap coord1

s_waitcnt vmcnt(7)                                 // wait C (interleaved) 7 = 8 - 0 + 0 - 1
V_cvt_pk_f32_fp8 v[12:13], v18    // convert two f8 in lo_16 to f32
_v_mac_f32 v[vgprValuC+20], v12, s[sgprBeta]       // finalSum = sum*alpha + C*beta
_v_mac_f32 v[vgprValuC+21], v13, s[sgprBeta]       // finalSum = sum*alpha + C*beta
V_cvt_pk_f32_fp8 v[12:13], v18  src0_sel:WORD_1  // convert two f8 in hi_16 to f32
_v_mac_f32 v[vgprValuC+22], v12, s[sgprBeta]       // finalSum = sum*alpha + C*beta
_v_mac_f32 v[vgprValuC+23], v13, s[sgprBeta]       // finalSum = sum*alpha + C*beta
v_cmp_class_f32 s[54:55], v[vgprValuC+20], v16     // check NaN and +/-INF
v_med3_f32 v12, v[vgprValuC+20], v14, v15          // Clipping f32 value if exceeds the limit
v_cndmask_b32 v12, v12, v[vgprValuC+20], s[54:55]  // 
v_cmp_class_f32 s[54:55], v[vgprValuC+21], v16     // check NaN and +/-INF
v_med3_f32 v13, v[vgprValuC+21], v14, v15          // Clipping f32 value if exceeds the limit
v_cndmask_b32 v13, v13, v[vgprValuC+21], s[54:55]  // 
v_cvt_pk_fp8_f32  v20, v12, v13 op_sel:[0,0,0]     // convert two f32 accumulated values to fp8 and save it to lo_16[0:15]
v_cmp_class_f32 s[54:55], v[vgprValuC+22], v16     // check NaN and +/-INF
v_med3_f32 v12, v[vgprValuC+22], v14, v15          // Clipping f32 value if exceeds the limit
v_cndmask_b32 v12, v12, v[vgprValuC+22], s[54:55]  // 
v_cmp_class_f32 s[54:55], v[vgprValuC+23], v16     // check NaN and +/-INF
v_med3_f32 v13, v[vgprValuC+23], v14, v15          // Clipping f32 value if exceeds the limit
v_cndmask_b32 v13, v13, v[vgprValuC+23], s[54:55]  // 
v_cvt_pk_fp8_f32  v20, v12, v13 op_sel:[0,0,1]     // convert two f32 accumulated values to fp8 and save it to hi_16[16:31]
_ds_store_b32 v7, v20, offset:0                    // storeRemap lw

s_waitcnt vmcnt(6)                                 // wait C (interleaved) 6 = 8 - 1 + 0 - 1
V_cvt_pk_f32_fp8 v[12:13], v19    // convert two f8 in lo_16 to f32
_v_mac_f32 v[vgprValuC+24], v12, s[sgprBeta]       // finalSum = sum*alpha + C*beta
_v_mac_f32 v[vgprValuC+25], v13, s[sgprBeta]       // finalSum = sum*alpha + C*beta
V_cvt_pk_f32_fp8 v[12:13], v19  src0_sel:WORD_1  // convert two f8 in hi_16 to f32
_v_mac_f32 v[vgprValuC+26], v12, s[sgprBeta]       // finalSum = sum*alpha + C*beta
_v_mac_f32 v[vgprValuC+27], v13, s[sgprBeta]       // finalSum = sum*alpha + C*beta
v_cmp_class_f32 s[54:55], v[vgprValuC+24], v16     // check NaN and +/-INF
v_med3_f32 v12, v[vgprValuC+24], v14, v15          // Clipping f32 value if exceeds the limit
v_cndmask_b32 v12, v12, v[vgprValuC+24], s[54:55]  // 
v_cmp_class_f32 s[54:55], v[vgprValuC+25], v16     // check NaN and +/-INF
v_med3_f32 v13, v[vgprValuC+25], v14, v15          // Clipping f32 value if exceeds the limit
v_cndmask_b32 v13, v13, v[vgprValuC+25], s[54:55]  // 
v_cvt_pk_fp8_f32  v24, v12, v13 op_sel:[0,0,0]     // convert two f32 accumulated values to fp8 and save it to lo_16[0:15]
v_cmp_class_f32 s[54:55], v[vgprValuC+26], v16     // check NaN and +/-INF
v_med3_f32 v12, v[vgprValuC+26], v14, v15          // Clipping f32 value if exceeds the limit
v_cndmask_b32 v12, v12, v[vgprValuC+26], s[54:55]  // 
v_cmp_class_f32 s[54:55], v[vgprValuC+27], v16     // check NaN and +/-INF
v_med3_f32 v13, v[vgprValuC+27], v14, v15          // Clipping f32 value if exceeds the limit
v_cndmask_b32 v13, v13, v[vgprValuC+27], s[54:55]  // 
v_cvt_pk_fp8_f32  v24, v12, v13 op_sel:[0,0,1]     // convert two f32 accumulated values to fp8 and save it to hi_16[16:31]
_ds_store_b32 v7, v24, offset:8                    // storeRemap lw

s_waitcnt vmcnt(5)                                 // wait C (interleaved) 5 = 8 - 2 + 0 - 1
V_cvt_pk_f32_fp8 v[12:13], v28    // convert two f8 in lo_16 to f32
_v_mac_f32 v[vgprValuC+32], v12, s[sgprBeta]       // finalSum = sum*alpha + C*beta
_v_mac_f32 v[vgprValuC+33], v13, s[sgprBeta]       // finalSum = sum*alpha + C*beta
V_cvt_pk_f32_fp8 v[12:13], v28  src0_sel:WORD_1  // convert two f8 in hi_16 to f32
_v_mac_f32 v[vgprValuC+34], v12, s[sgprBeta]       // finalSum = sum*alpha + C*beta
_v_mac_f32 v[vgprValuC+35], v13, s[sgprBeta]       // finalSum = sum*alpha + C*beta
v_cmp_class_f32 s[54:55], v[vgprValuC+32], v16     // check NaN and +/-INF
v_med3_f32 v12, v[vgprValuC+32], v14, v15          // Clipping f32 value if exceeds the limit
v_cndmask_b32 v12, v12, v[vgprValuC+32], s[54:55]  // 
v_cmp_class_f32 s[54:55], v[vgprValuC+33], v16     // check NaN and +/-INF
v_med3_f32 v13, v[vgprValuC+33], v14, v15          // Clipping f32 value if exceeds the limit
v_cndmask_b32 v13, v13, v[vgprValuC+33], s[54:55]  // 
v_cvt_pk_fp8_f32  v32, v12, v13 op_sel:[0,0,0]     // convert two f32 accumulated values to fp8 and save it to lo_16[0:15]
v_cmp_class_f32 s[54:55], v[vgprValuC+34], v16     // check NaN and +/-INF
v_med3_f32 v12, v[vgprValuC+34], v14, v15          // Clipping f32 value if exceeds the limit
v_cndmask_b32 v12, v12, v[vgprValuC+34], s[54:55]  // 
v_cmp_class_f32 s[54:55], v[vgprValuC+35], v16     // check NaN and +/-INF
v_med3_f32 v13, v[vgprValuC+35], v14, v15          // Clipping f32 value if exceeds the limit
v_cndmask_b32 v13, v13, v[vgprValuC+35], s[54:55]  // 
v_cvt_pk_fp8_f32  v32, v12, v13 op_sel:[0,0,1]     // convert two f32 accumulated values to fp8 and save it to hi_16[16:31]
_ds_store_b32 v7, v32, offset:16                   // storeRemap lw

s_waitcnt vmcnt(4)                                 // wait C (interleaved) 4 = 8 - 3 + 0 - 1
V_cvt_pk_f32_fp8 v[12:13], v29    // convert two f8 in lo_16 to f32
_v_mac_f32 v[vgprValuC+36], v12, s[sgprBeta]       // finalSum = sum*alpha + C*beta
_v_mac_f32 v[vgprValuC+37], v13, s[sgprBeta]       // finalSum = sum*alpha + C*beta
V_cvt_pk_f32_fp8 v[12:13], v29  src0_sel:WORD_1  // convert two f8 in hi_16 to f32
_v_mac_f32 v[vgprValuC+38], v12, s[sgprBeta]       // finalSum = sum*alpha + C*beta
_v_mac_f32 v[vgprValuC+39], v13, s[sgprBeta]       // finalSum = sum*alpha + C*beta
v_cmp_class_f32 s[54:55], v[vgprValuC+36], v16     // check NaN and +/-INF
v_med3_f32 v12, v[vgprValuC+36], v14, v15          // Clipping f32 value if exceeds the limit
v_cndmask_b32 v12, v12, v[vgprValuC+36], s[54:55]  // 
v_cmp_class_f32 s[54:55], v[vgprValuC+37], v16     // check NaN and +/-INF
v_med3_f32 v13, v[vgprValuC+37], v14, v15          // Clipping f32 value if exceeds the limit
v_cndmask_b32 v13, v13, v[vgprValuC+37], s[54:55]  // 
v_cvt_pk_fp8_f32  v36, v12, v13 op_sel:[0,0,0]     // convert two f32 accumulated values to fp8 and save it to lo_16[0:15]
v_cmp_class_f32 s[54:55], v[vgprValuC+38], v16     // check NaN and +/-INF
v_med3_f32 v12, v[vgprValuC+38], v14, v15          // Clipping f32 value if exceeds the limit
v_cndmask_b32 v12, v12, v[vgprValuC+38], s[54:55]  // 
v_cmp_class_f32 s[54:55], v[vgprValuC+39], v16     // check NaN and +/-INF
v_med3_f32 v13, v[vgprValuC+39], v14, v15          // Clipping f32 value if exceeds the limit
v_cndmask_b32 v13, v13, v[vgprValuC+39], s[54:55]  // 
v_cvt_pk_fp8_f32  v36, v12, v13 op_sel:[0,0,1]     // convert two f32 accumulated values to fp8 and save it to hi_16[16:31]
_ds_store_b32 v7, v36, offset:24                   // storeRemap lw

s_waitcnt vmcnt(3)                                 // wait C (interleaved) 3 = 8 - 4 + 0 - 1
V_cvt_pk_f32_fp8 v[12:13], v30    // convert two f8 in lo_16 to f32
_v_mac_f32 v[vgprValuC+40], v12, s[sgprBeta]       // finalSum = sum*alpha + C*beta
_v_mac_f32 v[vgprValuC+41], v13, s[sgprBeta]       // finalSum = sum*alpha + C*beta
V_cvt_pk_f32_fp8 v[12:13], v30  src0_sel:WORD_1  // convert two f8 in hi_16 to f32
_v_mac_f32 v[vgprValuC+42], v12, s[sgprBeta]       // finalSum = sum*alpha + C*beta
_v_mac_f32 v[vgprValuC+43], v13, s[sgprBeta]       // finalSum = sum*alpha + C*beta
v_cmp_class_f32 s[54:55], v[vgprValuC+40], v16     // check NaN and +/-INF
v_med3_f32 v12, v[vgprValuC+40], v14, v15          // Clipping f32 value if exceeds the limit
v_cndmask_b32 v12, v12, v[vgprValuC+40], s[54:55]  // 
v_cmp_class_f32 s[54:55], v[vgprValuC+41], v16     // check NaN and +/-INF
v_med3_f32 v13, v[vgprValuC+41], v14, v15          // Clipping f32 value if exceeds the limit
v_cndmask_b32 v13, v13, v[vgprValuC+41], s[54:55]  // 
v_cvt_pk_fp8_f32  v40, v12, v13 op_sel:[0,0,0]     // convert two f32 accumulated values to fp8 and save it to lo_16[0:15]
v_cmp_class_f32 s[54:55], v[vgprValuC+42], v16     // check NaN and +/-INF
v_med3_f32 v12, v[vgprValuC+42], v14, v15          // Clipping f32 value if exceeds the limit
v_cndmask_b32 v12, v12, v[vgprValuC+42], s[54:55]  // 
v_cmp_class_f32 s[54:55], v[vgprValuC+43], v16     // check NaN and +/-INF
v_med3_f32 v13, v[vgprValuC+43], v14, v15          // Clipping f32 value if exceeds the limit
v_cndmask_b32 v13, v13, v[vgprValuC+43], s[54:55]  // 
v_cvt_pk_fp8_f32  v40, v12, v13 op_sel:[0,0,1]     // convert two f32 accumulated values to fp8 and save it to hi_16[16:31]
_ds_store_b32 v7, v40, offset:128                  // storeRemap lw

s_waitcnt vmcnt(2)                                 // wait C (interleaved) 2 = 8 - 5 + 0 - 1
V_cvt_pk_f32_fp8 v[12:13], v31    // convert two f8 in lo_16 to f32
_v_mac_f32 v[vgprValuC+44], v12, s[sgprBeta]       // finalSum = sum*alpha + C*beta
_v_mac_f32 v[vgprValuC+45], v13, s[sgprBeta]       // finalSum = sum*alpha + C*beta
V_cvt_pk_f32_fp8 v[12:13], v31  src0_sel:WORD_1  // convert two f8 in hi_16 to f32
_v_mac_f32 v[vgprValuC+46], v12, s[sgprBeta]       // finalSum = sum*alpha + C*beta
_v_mac_f32 v[vgprValuC+47], v13, s[sgprBeta]       // finalSum = sum*alpha + C*beta
v_cmp_class_f32 s[54:55], v[vgprValuC+44], v16     // check NaN and +/-INF
v_med3_f32 v12, v[vgprValuC+44], v14, v15          // Clipping f32 value if exceeds the limit
v_cndmask_b32 v12, v12, v[vgprValuC+44], s[54:55]  // 
v_cmp_class_f32 s[54:55], v[vgprValuC+45], v16     // check NaN and +/-INF
v_med3_f32 v13, v[vgprValuC+45], v14, v15          // Clipping f32 value if exceeds the limit
v_cndmask_b32 v13, v13, v[vgprValuC+45], s[54:55]  // 
v_cvt_pk_fp8_f32  v44, v12, v13 op_sel:[0,0,0]     // convert two f32 accumulated values to fp8 and save it to lo_16[0:15]
v_cmp_class_f32 s[54:55], v[vgprValuC+46], v16     // check NaN and +/-INF
v_med3_f32 v12, v[vgprValuC+46], v14, v15          // Clipping f32 value if exceeds the limit
v_cndmask_b32 v12, v12, v[vgprValuC+46], s[54:55]  // 
v_cmp_class_f32 s[54:55], v[vgprValuC+47], v16     // check NaN and +/-INF
v_med3_f32 v13, v[vgprValuC+47], v14, v15          // Clipping f32 value if exceeds the limit
v_cndmask_b32 v13, v13, v[vgprValuC+47], s[54:55]  // 
v_cvt_pk_fp8_f32  v44, v12, v13 op_sel:[0,0,1]     // convert two f32 accumulated values to fp8 and save it to hi_16[16:31]
_ds_store_b32 v7, v44, offset:136                  // storeRemap lw
	;; [unrolled: 23-line block ×4, first 2 shown]

/* Handle local read and global write */
s_waitcnt lgkmcnt(0)                               // wait for LDS write
s_barrier //wait all lds write finished

_ds_load_b128 v[20:23], v8, offset:0               // storeRemap lr
_ds_load_b128 v[24:27], v8, offset:1088            // storeRemap lr

v_mov_b32 v18, v6                                  // coord1
v_mul_lo_u32 v18, v18, s[sgprStrideD1J]            // coord1 offset =  coord1 * StrideD
_v_add_lshl_u32 v18, v18, v4, 0x0                  // global write D address
s_waitcnt lgkmcnt(1)                               // wait for LDS read
_buffer_store_b128 v[20:23], v18, s[sgprSrdD:sgprSrdD+3], 0, offen, offset:0 // store D
_v_add_u32 v18, v6, 4                              // coord1 += nColPerLoad
v_mul_lo_u32 v18, v18, s[sgprStrideD1J]            // coord1 offset =  coord1 * StrideD
_v_add_lshl_u32 v18, v18, v4, 0x0                  // global write D address
s_waitcnt lgkmcnt(0)                               // wait for LDS read
_buffer_store_b128 v[24:27], v18, s[sgprSrdD:sgprSrdD+3], 0, offen, offset:0 // store D

s_barrier //wait all lds read finished
s_nop 0                                            // 1 wait state required when next inst writes vgprs held by previous dwordx4 store inst
/* optSingleColVgpr=1 optSharedColVgpr=0 optSGPRUsage=BufferLoad_Mask optSrdIncForRow=1 */

/******************************************/
/* Global Write Alpha Beta Batch #7 (d1,d0,vc1,vc0) = */
/*    (7,0,0,0:vw4); (7,1,0,0:vw4); (7,2,0,0:vw4); (7,3,0,0:vw4); (7,4,0,0:vw4); (7,5,0,0:vw4); (7,6,0,0:vw4); (7,7,0,0:vw4) */
/******************************************/

/* calc coords, apply mask, and issue loads (if necessary) */
/* (d1,vc1,d0,vc0)=(7,0,0,0) */
s_mul_i32 s54, s[sgprStrideC1J], 32                // scale StrideC *= numRows(32) * bpe
s_add_u32  s[sgprSrdC+0], s[sgprSrdC+0], s54       // incToNextRow: gra SRD += inc(lower)
s_addc_u32  s[sgprSrdC+1], s[sgprSrdC+1], 0        // incToNextRow: gra SRD += inc(upper)
_buffer_load_b32 v18, v17, s[sgprSrdC:sgprSrdC+3], 0, offen offset:0 // load C for beta calc
/* (d1,vc1,d0,vc0)=(7,0,1,0) */
_buffer_load_b32 v19, v17, s[sgprSrdC:sgprSrdC+3], 0, offen offset:8 // load C for beta calc
/* (d1,vc1,d0,vc0)=(7,0,2,0) */
_buffer_load_b32 v28, v17, s[sgprSrdC:sgprSrdC+3], 0, offen offset:16 // load C for beta calc
/* (d1,vc1,d0,vc0)=(7,0,3,0) */
_buffer_load_b32 v29, v17, s[sgprSrdC:sgprSrdC+3], 0, offen offset:24 // load C for beta calc
/* (d1,vc1,d0,vc0)=(7,0,4,0) */
_buffer_load_b32 v30, v17, s[sgprSrdC:sgprSrdC+3], 0, offen offset:128 // load C for beta calc
/* (d1,vc1,d0,vc0)=(7,0,5,0) */
_buffer_load_b32 v31, v17, s[sgprSrdC:sgprSrdC+3], 0, offen offset:136 // load C for beta calc
/* (d1,vc1,d0,vc0)=(7,0,6,0) */
_buffer_load_b32 v48, v17, s[sgprSrdC:sgprSrdC+3], 0, offen offset:144 // load C for beta calc
/* (d1,vc1,d0,vc0)=(7,0,7,0) */
_buffer_load_b32 v49, v17, s[sgprSrdC:sgprSrdC+3], 0, offen offset:152 // load C for beta calc
v_accvgpr_read_b32 v[vgprValuC+20], acc224 // copy acc to vreg[224]
v_accvgpr_read_b32 v[vgprValuC+21], acc225 // copy acc to vreg[225]
v_accvgpr_read_b32 v[vgprValuC+22], acc226 // copy acc to vreg[226]
v_accvgpr_read_b32 v[vgprValuC+23], acc227 // copy acc to vreg[227]
v_accvgpr_read_b32 v[vgprValuC+24], acc228 // copy acc to vreg[228]
v_accvgpr_read_b32 v[vgprValuC+25], acc229 // copy acc to vreg[229]
v_accvgpr_read_b32 v[vgprValuC+26], acc230 // copy acc to vreg[230]
v_accvgpr_read_b32 v[vgprValuC+27], acc231 // copy acc to vreg[231]
v_accvgpr_read_b32 v[vgprValuC+32], acc232 // copy acc to vreg[232]
v_accvgpr_read_b32 v[vgprValuC+33], acc233 // copy acc to vreg[233]
v_accvgpr_read_b32 v[vgprValuC+34], acc234 // copy acc to vreg[234]
v_accvgpr_read_b32 v[vgprValuC+35], acc235 // copy acc to vreg[235]
v_accvgpr_read_b32 v[vgprValuC+36], acc236 // copy acc to vreg[236]
v_accvgpr_read_b32 v[vgprValuC+37], acc237 // copy acc to vreg[237]
v_accvgpr_read_b32 v[vgprValuC+38], acc238 // copy acc to vreg[238]
v_accvgpr_read_b32 v[vgprValuC+39], acc239 // copy acc to vreg[239]
v_accvgpr_read_b32 v[vgprValuC+40], acc240 // copy acc to vreg[240]
v_accvgpr_read_b32 v[vgprValuC+41], acc241 // copy acc to vreg[241]
v_accvgpr_read_b32 v[vgprValuC+42], acc242 // copy acc to vreg[242]
v_accvgpr_read_b32 v[vgprValuC+43], acc243 // copy acc to vreg[243]
v_accvgpr_read_b32 v[vgprValuC+44], acc244 // copy acc to vreg[244]
v_accvgpr_read_b32 v[vgprValuC+45], acc245 // copy acc to vreg[245]
v_accvgpr_read_b32 v[vgprValuC+46], acc246 // copy acc to vreg[246]
v_accvgpr_read_b32 v[vgprValuC+47], acc247 // copy acc to vreg[247]
v_accvgpr_read_b32 v[vgprValuC+52], acc248 // copy acc to vreg[248]
v_accvgpr_read_b32 v[vgprValuC+53], acc249 // copy acc to vreg[249]
v_accvgpr_read_b32 v[vgprValuC+54], acc250 // copy acc to vreg[250]
v_accvgpr_read_b32 v[vgprValuC+55], acc251 // copy acc to vreg[251]
v_accvgpr_read_b32 v[vgprValuC+56], acc252 // copy acc to vreg[252]
v_accvgpr_read_b32 v[vgprValuC+57], acc253 // copy acc to vreg[253]
v_accvgpr_read_b32 v[vgprValuC+58], acc254 // copy acc to vreg[254]
v_accvgpr_read_b32 v[vgprValuC+59], acc255 // copy acc to vreg[255]
s_nop 1                                            // 2 wait states required before reading vgpr

/* rC *= alpha batchElements=[(7, 0, 0, 0), (7, 1, 0, 0), (7, 2, 0, 0), (7, 3, 0, 0), (7, 4, 0, 0), (7, 5, 0, 0), (7, 6, 0, 0), (7, 7, 0, 0)] */
v_mul_f32 v[vgprValuC+20], s[sgprAlpha], v[vgprValuC+20] // *= alpha
v_mul_f32 v[vgprValuC+21], s[sgprAlpha], v[vgprValuC+21] // *= alpha
	;; [unrolled: 1-line block ×32, first 2 shown]

/* apply mask, calc new C and issue writes */
v_mov_b32 v16, 0x207                               // flag for Nan and +/- inf
v_mov_b32 v14, 0x43700000                          // save 240.0f as max for clipping
v_mov_b32 v15, 0xC3700000                          // save -240.0f as min for clipping

/* StoreRemap: shift coord1 address */
s_mul_i32 s54, s[sgprStrideD1J], 32                // scale StrideD *= numRows(32) * bpe
s_add_u32  s[sgprSrdD+0], s[sgprSrdD+0], s54       // incToNextRow: gra SRD += inc(lower)
s_addc_u32  s[sgprSrdD+1], s[sgprSrdD+1], 0        // incToNextRow: gra SRD += inc(upper)
v_mov_b32 v10, 32                                  // set shift rows
_v_add_u32 v5, v5, v10                             // shift storeRemap coord1

s_waitcnt vmcnt(7)                                 // wait C (interleaved) 7 = 8 - 0 + 0 - 1
V_cvt_pk_f32_fp8 v[12:13], v18    // convert two f8 in lo_16 to f32
_v_mac_f32 v[vgprValuC+20], v12, s[sgprBeta]       // finalSum = sum*alpha + C*beta
_v_mac_f32 v[vgprValuC+21], v13, s[sgprBeta]       // finalSum = sum*alpha + C*beta
V_cvt_pk_f32_fp8 v[12:13], v18  src0_sel:WORD_1  // convert two f8 in hi_16 to f32
_v_mac_f32 v[vgprValuC+22], v12, s[sgprBeta]       // finalSum = sum*alpha + C*beta
_v_mac_f32 v[vgprValuC+23], v13, s[sgprBeta]       // finalSum = sum*alpha + C*beta
v_cmp_class_f32 s[54:55], v[vgprValuC+20], v16     // check NaN and +/-INF
v_med3_f32 v12, v[vgprValuC+20], v14, v15          // Clipping f32 value if exceeds the limit
v_cndmask_b32 v12, v12, v[vgprValuC+20], s[54:55]  // 
v_cmp_class_f32 s[54:55], v[vgprValuC+21], v16     // check NaN and +/-INF
v_med3_f32 v13, v[vgprValuC+21], v14, v15          // Clipping f32 value if exceeds the limit
v_cndmask_b32 v13, v13, v[vgprValuC+21], s[54:55]  // 
v_cvt_pk_fp8_f32  v20, v12, v13 op_sel:[0,0,0]     // convert two f32 accumulated values to fp8 and save it to lo_16[0:15]
v_cmp_class_f32 s[54:55], v[vgprValuC+22], v16     // check NaN and +/-INF
v_med3_f32 v12, v[vgprValuC+22], v14, v15          // Clipping f32 value if exceeds the limit
v_cndmask_b32 v12, v12, v[vgprValuC+22], s[54:55]  // 
v_cmp_class_f32 s[54:55], v[vgprValuC+23], v16     // check NaN and +/-INF
v_med3_f32 v13, v[vgprValuC+23], v14, v15          // Clipping f32 value if exceeds the limit
v_cndmask_b32 v13, v13, v[vgprValuC+23], s[54:55]  // 
v_cvt_pk_fp8_f32  v20, v12, v13 op_sel:[0,0,1]     // convert two f32 accumulated values to fp8 and save it to hi_16[16:31]
_ds_store_b32 v7, v20, offset:0                    // storeRemap lw

s_waitcnt vmcnt(6)                                 // wait C (interleaved) 6 = 8 - 1 + 0 - 1
V_cvt_pk_f32_fp8 v[12:13], v19    // convert two f8 in lo_16 to f32
_v_mac_f32 v[vgprValuC+24], v12, s[sgprBeta]       // finalSum = sum*alpha + C*beta
_v_mac_f32 v[vgprValuC+25], v13, s[sgprBeta]       // finalSum = sum*alpha + C*beta
V_cvt_pk_f32_fp8 v[12:13], v19  src0_sel:WORD_1  // convert two f8 in hi_16 to f32
_v_mac_f32 v[vgprValuC+26], v12, s[sgprBeta]       // finalSum = sum*alpha + C*beta
_v_mac_f32 v[vgprValuC+27], v13, s[sgprBeta]       // finalSum = sum*alpha + C*beta
v_cmp_class_f32 s[54:55], v[vgprValuC+24], v16     // check NaN and +/-INF
v_med3_f32 v12, v[vgprValuC+24], v14, v15          // Clipping f32 value if exceeds the limit
v_cndmask_b32 v12, v12, v[vgprValuC+24], s[54:55]  // 
v_cmp_class_f32 s[54:55], v[vgprValuC+25], v16     // check NaN and +/-INF
v_med3_f32 v13, v[vgprValuC+25], v14, v15          // Clipping f32 value if exceeds the limit
v_cndmask_b32 v13, v13, v[vgprValuC+25], s[54:55]  // 
v_cvt_pk_fp8_f32  v24, v12, v13 op_sel:[0,0,0]     // convert two f32 accumulated values to fp8 and save it to lo_16[0:15]
v_cmp_class_f32 s[54:55], v[vgprValuC+26], v16     // check NaN and +/-INF
v_med3_f32 v12, v[vgprValuC+26], v14, v15          // Clipping f32 value if exceeds the limit
v_cndmask_b32 v12, v12, v[vgprValuC+26], s[54:55]  // 
v_cmp_class_f32 s[54:55], v[vgprValuC+27], v16     // check NaN and +/-INF
v_med3_f32 v13, v[vgprValuC+27], v14, v15          // Clipping f32 value if exceeds the limit
v_cndmask_b32 v13, v13, v[vgprValuC+27], s[54:55]  // 
v_cvt_pk_fp8_f32  v24, v12, v13 op_sel:[0,0,1]     // convert two f32 accumulated values to fp8 and save it to hi_16[16:31]
_ds_store_b32 v7, v24, offset:8                    // storeRemap lw

s_waitcnt vmcnt(5)                                 // wait C (interleaved) 5 = 8 - 2 + 0 - 1
V_cvt_pk_f32_fp8 v[12:13], v28    // convert two f8 in lo_16 to f32
_v_mac_f32 v[vgprValuC+32], v12, s[sgprBeta]       // finalSum = sum*alpha + C*beta
_v_mac_f32 v[vgprValuC+33], v13, s[sgprBeta]       // finalSum = sum*alpha + C*beta
V_cvt_pk_f32_fp8 v[12:13], v28  src0_sel:WORD_1  // convert two f8 in hi_16 to f32
_v_mac_f32 v[vgprValuC+34], v12, s[sgprBeta]       // finalSum = sum*alpha + C*beta
_v_mac_f32 v[vgprValuC+35], v13, s[sgprBeta]       // finalSum = sum*alpha + C*beta
v_cmp_class_f32 s[54:55], v[vgprValuC+32], v16     // check NaN and +/-INF
v_med3_f32 v12, v[vgprValuC+32], v14, v15          // Clipping f32 value if exceeds the limit
v_cndmask_b32 v12, v12, v[vgprValuC+32], s[54:55]  // 
v_cmp_class_f32 s[54:55], v[vgprValuC+33], v16     // check NaN and +/-INF
v_med3_f32 v13, v[vgprValuC+33], v14, v15          // Clipping f32 value if exceeds the limit
v_cndmask_b32 v13, v13, v[vgprValuC+33], s[54:55]  // 
v_cvt_pk_fp8_f32  v32, v12, v13 op_sel:[0,0,0]     // convert two f32 accumulated values to fp8 and save it to lo_16[0:15]
v_cmp_class_f32 s[54:55], v[vgprValuC+34], v16     // check NaN and +/-INF
v_med3_f32 v12, v[vgprValuC+34], v14, v15          // Clipping f32 value if exceeds the limit
v_cndmask_b32 v12, v12, v[vgprValuC+34], s[54:55]  // 
v_cmp_class_f32 s[54:55], v[vgprValuC+35], v16     // check NaN and +/-INF
v_med3_f32 v13, v[vgprValuC+35], v14, v15          // Clipping f32 value if exceeds the limit
v_cndmask_b32 v13, v13, v[vgprValuC+35], s[54:55]  // 
v_cvt_pk_fp8_f32  v32, v12, v13 op_sel:[0,0,1]     // convert two f32 accumulated values to fp8 and save it to hi_16[16:31]
_ds_store_b32 v7, v32, offset:16                   // storeRemap lw

s_waitcnt vmcnt(4)                                 // wait C (interleaved) 4 = 8 - 3 + 0 - 1
V_cvt_pk_f32_fp8 v[12:13], v29    // convert two f8 in lo_16 to f32
_v_mac_f32 v[vgprValuC+36], v12, s[sgprBeta]       // finalSum = sum*alpha + C*beta
_v_mac_f32 v[vgprValuC+37], v13, s[sgprBeta]       // finalSum = sum*alpha + C*beta
V_cvt_pk_f32_fp8 v[12:13], v29  src0_sel:WORD_1  // convert two f8 in hi_16 to f32
_v_mac_f32 v[vgprValuC+38], v12, s[sgprBeta]       // finalSum = sum*alpha + C*beta
_v_mac_f32 v[vgprValuC+39], v13, s[sgprBeta]       // finalSum = sum*alpha + C*beta
v_cmp_class_f32 s[54:55], v[vgprValuC+36], v16     // check NaN and +/-INF
v_med3_f32 v12, v[vgprValuC+36], v14, v15          // Clipping f32 value if exceeds the limit
v_cndmask_b32 v12, v12, v[vgprValuC+36], s[54:55]  // 
v_cmp_class_f32 s[54:55], v[vgprValuC+37], v16     // check NaN and +/-INF
v_med3_f32 v13, v[vgprValuC+37], v14, v15          // Clipping f32 value if exceeds the limit
v_cndmask_b32 v13, v13, v[vgprValuC+37], s[54:55]  // 
v_cvt_pk_fp8_f32  v36, v12, v13 op_sel:[0,0,0]     // convert two f32 accumulated values to fp8 and save it to lo_16[0:15]
v_cmp_class_f32 s[54:55], v[vgprValuC+38], v16     // check NaN and +/-INF
v_med3_f32 v12, v[vgprValuC+38], v14, v15          // Clipping f32 value if exceeds the limit
v_cndmask_b32 v12, v12, v[vgprValuC+38], s[54:55]  // 
v_cmp_class_f32 s[54:55], v[vgprValuC+39], v16     // check NaN and +/-INF
v_med3_f32 v13, v[vgprValuC+39], v14, v15          // Clipping f32 value if exceeds the limit
v_cndmask_b32 v13, v13, v[vgprValuC+39], s[54:55]  // 
v_cvt_pk_fp8_f32  v36, v12, v13 op_sel:[0,0,1]     // convert two f32 accumulated values to fp8 and save it to hi_16[16:31]
_ds_store_b32 v7, v36, offset:24                   // storeRemap lw

s_waitcnt vmcnt(3)                                 // wait C (interleaved) 3 = 8 - 4 + 0 - 1
V_cvt_pk_f32_fp8 v[12:13], v30    // convert two f8 in lo_16 to f32
_v_mac_f32 v[vgprValuC+40], v12, s[sgprBeta]       // finalSum = sum*alpha + C*beta
_v_mac_f32 v[vgprValuC+41], v13, s[sgprBeta]       // finalSum = sum*alpha + C*beta
V_cvt_pk_f32_fp8 v[12:13], v30  src0_sel:WORD_1  // convert two f8 in hi_16 to f32
_v_mac_f32 v[vgprValuC+42], v12, s[sgprBeta]       // finalSum = sum*alpha + C*beta
_v_mac_f32 v[vgprValuC+43], v13, s[sgprBeta]       // finalSum = sum*alpha + C*beta
v_cmp_class_f32 s[54:55], v[vgprValuC+40], v16     // check NaN and +/-INF
v_med3_f32 v12, v[vgprValuC+40], v14, v15          // Clipping f32 value if exceeds the limit
v_cndmask_b32 v12, v12, v[vgprValuC+40], s[54:55]  // 
v_cmp_class_f32 s[54:55], v[vgprValuC+41], v16     // check NaN and +/-INF
v_med3_f32 v13, v[vgprValuC+41], v14, v15          // Clipping f32 value if exceeds the limit
v_cndmask_b32 v13, v13, v[vgprValuC+41], s[54:55]  // 
v_cvt_pk_fp8_f32  v40, v12, v13 op_sel:[0,0,0]     // convert two f32 accumulated values to fp8 and save it to lo_16[0:15]
v_cmp_class_f32 s[54:55], v[vgprValuC+42], v16     // check NaN and +/-INF
v_med3_f32 v12, v[vgprValuC+42], v14, v15          // Clipping f32 value if exceeds the limit
v_cndmask_b32 v12, v12, v[vgprValuC+42], s[54:55]  // 
v_cmp_class_f32 s[54:55], v[vgprValuC+43], v16     // check NaN and +/-INF
v_med3_f32 v13, v[vgprValuC+43], v14, v15          // Clipping f32 value if exceeds the limit
v_cndmask_b32 v13, v13, v[vgprValuC+43], s[54:55]  // 
v_cvt_pk_fp8_f32  v40, v12, v13 op_sel:[0,0,1]     // convert two f32 accumulated values to fp8 and save it to hi_16[16:31]
_ds_store_b32 v7, v40, offset:128                  // storeRemap lw

s_waitcnt vmcnt(2)                                 // wait C (interleaved) 2 = 8 - 5 + 0 - 1
V_cvt_pk_f32_fp8 v[12:13], v31    // convert two f8 in lo_16 to f32
_v_mac_f32 v[vgprValuC+44], v12, s[sgprBeta]       // finalSum = sum*alpha + C*beta
_v_mac_f32 v[vgprValuC+45], v13, s[sgprBeta]       // finalSum = sum*alpha + C*beta
V_cvt_pk_f32_fp8 v[12:13], v31  src0_sel:WORD_1  // convert two f8 in hi_16 to f32
_v_mac_f32 v[vgprValuC+46], v12, s[sgprBeta]       // finalSum = sum*alpha + C*beta
_v_mac_f32 v[vgprValuC+47], v13, s[sgprBeta]       // finalSum = sum*alpha + C*beta
v_cmp_class_f32 s[54:55], v[vgprValuC+44], v16     // check NaN and +/-INF
v_med3_f32 v12, v[vgprValuC+44], v14, v15          // Clipping f32 value if exceeds the limit
v_cndmask_b32 v12, v12, v[vgprValuC+44], s[54:55]  // 
v_cmp_class_f32 s[54:55], v[vgprValuC+45], v16     // check NaN and +/-INF
v_med3_f32 v13, v[vgprValuC+45], v14, v15          // Clipping f32 value if exceeds the limit
v_cndmask_b32 v13, v13, v[vgprValuC+45], s[54:55]  // 
v_cvt_pk_fp8_f32  v44, v12, v13 op_sel:[0,0,0]     // convert two f32 accumulated values to fp8 and save it to lo_16[0:15]
v_cmp_class_f32 s[54:55], v[vgprValuC+46], v16     // check NaN and +/-INF
v_med3_f32 v12, v[vgprValuC+46], v14, v15          // Clipping f32 value if exceeds the limit
v_cndmask_b32 v12, v12, v[vgprValuC+46], s[54:55]  // 
v_cmp_class_f32 s[54:55], v[vgprValuC+47], v16     // check NaN and +/-INF
v_med3_f32 v13, v[vgprValuC+47], v14, v15          // Clipping f32 value if exceeds the limit
v_cndmask_b32 v13, v13, v[vgprValuC+47], s[54:55]  // 
v_cvt_pk_fp8_f32  v44, v12, v13 op_sel:[0,0,1]     // convert two f32 accumulated values to fp8 and save it to hi_16[16:31]
_ds_store_b32 v7, v44, offset:136                  // storeRemap lw
	;; [unrolled: 23-line block ×4, first 2 shown]

/* Handle local read and global write */
s_waitcnt lgkmcnt(0)                               // wait for LDS write
s_barrier //wait all lds write finished

_ds_load_b128 v[20:23], v8, offset:0               // storeRemap lr
_ds_load_b128 v[24:27], v8, offset:1088            // storeRemap lr

v_mov_b32 v18, v6                                  // coord1
v_mul_lo_u32 v18, v18, s[sgprStrideD1J]            // coord1 offset =  coord1 * StrideD
_v_add_lshl_u32 v18, v18, v4, 0x0                  // global write D address
s_waitcnt lgkmcnt(1)                               // wait for LDS read
_buffer_store_b128 v[20:23], v18, s[sgprSrdD:sgprSrdD+3], 0, offen, offset:0 // store D
_v_add_u32 v18, v6, 4                              // coord1 += nColPerLoad
v_mul_lo_u32 v18, v18, s[sgprStrideD1J]            // coord1 offset =  coord1 * StrideD
_v_add_lshl_u32 v18, v18, v4, 0x0                  // global write D address
s_waitcnt lgkmcnt(0)                               // wait for LDS read
_buffer_store_b128 v[24:27], v18, s[sgprSrdD:sgprSrdD+3], 0, offen, offset:0 // store D

s_barrier //wait all lds read finished
s_nop 0                                            // 1 wait state required when next inst writes vgprs held by previous dwordx4 store inst
s_branch label_GW_End_124                          // jump to end
GW_B1_E1_123:

/* edge=1, allocate 6 sgpr. perBatchTmpS=4 perBatchMaskS=2 perElementMaskS=0 elementsPerBatch=8 */
/* optSingleColVgpr=0 optSharedColVgpr=0 optSGPRUsage=BufferLoad_Edge_Mask optSrdIncForRow=1 */

/******************************************/
/* Global Write Alpha Beta Edge Batch #0 (d1,d0,vc1,vc0) = */
/*    (0,0,0,0:vw1); (0,0,0,1:vw1); (0,0,0,2:vw1); (0,0,0,3:vw1); (0,1,0,0:vw1); (0,1,0,1:vw1); (0,1,0,2:vw1); (0,1,0,3:vw1) */
/******************************************/

/* calc coords, apply mask, and issue loads (if necessary) */
/* (d1,vc1,d0,vc0)=(0,0,0,0) */
v_cmp_lt_u32 s[54:55], v0, s[sgprSizeI]            // coord0 < size0
v_cmp_lt_u32 s[58:59], v1, s[sgprSizeJ]            // coord1 < size1
s_and_b64 s[58:59], s[54:55], s[58:59]             // in0 && in1
_v_add_lshl_u32 v9, v2, v0, 0x0                    // scaleToBpe: accumulate d0 lower and *= bpe into Cin addr
v_cndmask_b32 v9, -1, v9, s[58:59]                 // LDC clip if OOB. offset
buffer_load_ubyte v17, v9, s[sgprSrdC:sgprSrdC+3], 0, offen offset:0 // load C for beta calc
_v_add_lshl_u32 v9, v3, v0, 0x0                    // scaleToBpe: accumulate d0 lower and *= bpe into Cin addr
v_cndmask_b32 v9, -1, v9, s[58:59]                 // LDD clip if OOB. offset
/* (d1,vc1,d0,vc0)=(0,0,0,1) */
_v_add_co_u32 v10, vcc, v0, 1                      // coord0.1: coord0 += d0*sg0*VW + vc0
v_cmp_lt_u32 s[54:55], v10, s[sgprSizeI]           // coord0 < size0
v_cmp_lt_u32 s[58:59], v1, s[sgprSizeJ]            // coord1 < size1
s_and_b64 s[58:59], s[54:55], s[58:59]             // in0 && in1
_v_add_lshl_u32 v19, v2, v10, 0x0                  // scaleToBpe: accumulate d0 lower and *= bpe into Cin addr
v_cndmask_b32 v19, -1, v19, s[58:59]               // LDC clip if OOB. offset
buffer_load_ubyte v20, v19, s[sgprSrdC:sgprSrdC+3], 0, offen offset:0 // load C for beta calc
_v_add_lshl_u32 v19, v3, v10, 0x0                  // scaleToBpe: accumulate d0 lower and *= bpe into Cin addr
v_cndmask_b32 v19, -1, v19, s[58:59]               // LDD clip if OOB. offset
/* (d1,vc1,d0,vc0)=(0,0,0,2) */
_v_add_co_u32 v10, vcc, v0, 2                      // coord0.1: coord0 += d0*sg0*VW + vc0
v_cmp_lt_u32 s[54:55], v10, s[sgprSizeI]           // coord0 < size0
v_cmp_lt_u32 s[58:59], v1, s[sgprSizeJ]            // coord1 < size1
s_and_b64 s[58:59], s[54:55], s[58:59]             // in0 && in1
_v_add_lshl_u32 v22, v2, v10, 0x0                  // scaleToBpe: accumulate d0 lower and *= bpe into Cin addr
v_cndmask_b32 v22, -1, v22, s[58:59]               // LDC clip if OOB. offset
buffer_load_ubyte v23, v22, s[sgprSrdC:sgprSrdC+3], 0, offen offset:0 // load C for beta calc
_v_add_lshl_u32 v22, v3, v10, 0x0                  // scaleToBpe: accumulate d0 lower and *= bpe into Cin addr
v_cndmask_b32 v22, -1, v22, s[58:59]               // LDD clip if OOB. offset
	;; [unrolled: 10-line block ×5, first 2 shown]
/* (d1,vc1,d0,vc0)=(0,0,1,2) */
_v_add_co_u32 v10, vcc, v0, 10                     // coord0.1: coord0 += d0*sg0*VW + vc0
v_cmp_lt_u32 s[54:55], v10, s[sgprSizeI]           // coord0 < size0
v_cmp_lt_u32 s[58:59], v1, s[sgprSizeJ]            // coord1 < size1
s_and_b64 s[58:59], s[54:55], s[58:59]             // in0 && in1
_v_add_lshl_u32 v34, v2, v10, 0x0                  // scaleToBpe: accumulate d0 lower and *= bpe into Cin addr
v_cndmask_b32 v34, -1, v34, s[58:59]               // LDC clip if OOB. offset
buffer_load_ubyte v35, v34, s[sgprSrdC:sgprSrdC+3], 0, offen offset:0 // load C for beta calc
_v_add_lshl_u32 v34, v3, v10, 0x0                  // scaleToBpe: accumulate d0 lower and *= bpe into Cin addr
v_cndmask_b32 v34, -1, v34, s[58:59]               // LDD clip if OOB. offset
/* (d1,vc1,d0,vc0)=(0,0,1,3) */
_v_add_co_u32 v10, vcc, v0, 11                     // coord0.1: coord0 += d0*sg0*VW + vc0
v_cmp_lt_u32 s[54:55], v10, s[sgprSizeI]           // coord0 < size0
v_cmp_lt_u32 s[58:59], v1, s[sgprSizeJ]            // coord1 < size1
s_and_b64 s[58:59], s[54:55], s[58:59]             // in0 && in1
_v_add_lshl_u32 v37, v2, v10, 0x0                  // scaleToBpe: accumulate d0 lower and *= bpe into Cin addr
v_cndmask_b32 v37, -1, v37, s[58:59]               // LDC clip if OOB. offset
buffer_load_ubyte v38, v37, s[sgprSrdC:sgprSrdC+3], 0, offen offset:0 // load C for beta calc
_v_add_lshl_u32 v37, v3, v10, 0x0                  // scaleToBpe: accumulate d0 lower and *= bpe into Cin addr
v_cndmask_b32 v37, -1, v37, s[58:59]               // LDD clip if OOB. offset
v_accvgpr_read_b32 v[vgprValuC+18], acc0 // copy acc to vreg[0]
v_accvgpr_read_b32 v[vgprValuC+21], acc1 // copy acc to vreg[1]
v_accvgpr_read_b32 v[vgprValuC+24], acc2 // copy acc to vreg[2]
v_accvgpr_read_b32 v[vgprValuC+27], acc3 // copy acc to vreg[3]
v_accvgpr_read_b32 v[vgprValuC+30], acc4 // copy acc to vreg[4]
v_accvgpr_read_b32 v[vgprValuC+33], acc5 // copy acc to vreg[5]
v_accvgpr_read_b32 v[vgprValuC+36], acc6 // copy acc to vreg[6]
v_accvgpr_read_b32 v[vgprValuC+39], acc7 // copy acc to vreg[7]
s_nop 1                                            // 2 wait states required before reading vgpr

/* rC *= alpha batchElements=[(0, 0, 0, 0), (0, 0, 0, 1), (0, 0, 0, 2), (0, 0, 0, 3), (0, 1, 0, 0), (0, 1, 0, 1), (0, 1, 0, 2), (0, 1, 0, 3)] */
v_mul_f32 v[vgprValuC+18], s[sgprAlpha], v[vgprValuC+18] // *= alpha
v_mul_f32 v[vgprValuC+21], s[sgprAlpha], v[vgprValuC+21] // *= alpha
	;; [unrolled: 1-line block ×8, first 2 shown]
s_waitcnt vmcnt(0)                                 // wait C

/* apply mask, calc new C and issue writes */
v_mov_b32 v16, 0x207                               // flag for Nan and +/- inf
v_mov_b32 v14, 0x43700000                          // save 240.0f as max for clipping
v_mov_b32 v15, 0xC3700000                          // save -240.0f as min for clipping
v_cvt_f32_fp8 v12, v17 src0_sel:BYTE_0   // convert fp8 in lo_byte[0] to f32
_v_mac_f32 v[vgprValuC+18], v12, s[sgprBeta]       // finalSum = sum*alpha + C*beta
v_cmp_class_f32 s[54:55], v[vgprValuC+18], v16     // check NaN and +/-INF
v_med3_f32 v12, v[vgprValuC+18], v14, v15          // Clipping f32 value if exceeds the limit
v_cndmask_b32 v12, v12, v[vgprValuC+18], s[54:55]  // 
v_cvt_pk_fp8_f32  v18, v12, v12                    // convert f32 accumulated values to fp8
ds_write_b8 v7, v18, offset:0                      // storeRemap lw
v_cvt_f32_fp8 v12, v20 src0_sel:BYTE_0   // convert fp8 in lo_byte[0] to f32
_v_mac_f32 v[vgprValuC+21], v12, s[sgprBeta]       // finalSum = sum*alpha + C*beta
v_cmp_class_f32 s[54:55], v[vgprValuC+21], v16     // check NaN and +/-INF
v_med3_f32 v12, v[vgprValuC+21], v14, v15          // Clipping f32 value if exceeds the limit
v_cndmask_b32 v12, v12, v[vgprValuC+21], s[54:55]  // 
v_cvt_pk_fp8_f32  v21, v12, v12                    // convert f32 accumulated values to fp8
ds_write_b8 v7, v21, offset:1                      // storeRemap lw
	;; [unrolled: 7-line block ×6, first 2 shown]
v_cvt_f32_fp8 v12, v35 src0_sel:BYTE_0   // convert fp8 in lo_byte[0] to f32
_v_mac_f32 v[vgprValuC+36], v12, s[sgprBeta]       // finalSum = sum*alpha + C*beta
v_cmp_class_f32 s[54:55], v[vgprValuC+36], v16     // check NaN and +/-INF
v_med3_f32 v12, v[vgprValuC+36], v14, v15          // Clipping f32 value if exceeds the limit
v_cndmask_b32 v12, v12, v[vgprValuC+36], s[54:55]  // 
v_cvt_pk_fp8_f32  v36, v12, v12                    // convert f32 accumulated values to fp8
ds_write_b8 v7, v36, offset:10                     // storeRemap lw
v_cvt_f32_fp8 v12, v38 src0_sel:BYTE_0   // convert fp8 in lo_byte[0] to f32
_v_mac_f32 v[vgprValuC+39], v12, s[sgprBeta]       // finalSum = sum*alpha + C*beta
v_cmp_class_f32 s[54:55], v[vgprValuC+39], v16     // check NaN and +/-INF
v_med3_f32 v12, v[vgprValuC+39], v14, v15          // Clipping f32 value if exceeds the limit
v_cndmask_b32 v12, v12, v[vgprValuC+39], s[54:55]  // 
v_cvt_pk_fp8_f32  v39, v12, v12                    // convert f32 accumulated values to fp8
ds_write_b8 v7, v39, offset:11                     // storeRemap lw
s_nop 0                                            // 1 wait state required when next inst writes vgprs held by previous dwordx4 store inst
/* optSingleColVgpr=0 optSharedColVgpr=0 optSGPRUsage=BufferLoad_Edge_Mask optSrdIncForRow=1 */

/******************************************/
/* Global Write Alpha Beta Edge Batch #1 (d1,d0,vc1,vc0) = */
/*    (0,2,0,0:vw1); (0,2,0,1:vw1); (0,2,0,2:vw1); (0,2,0,3:vw1); (0,3,0,0:vw1); (0,3,0,1:vw1); (0,3,0,2:vw1); (0,3,0,3:vw1) */
/******************************************/

/* calc coords, apply mask, and issue loads (if necessary) */
/* (d1,vc1,d0,vc0)=(0,0,2,0) */
_v_add_co_u32 v10, vcc, v0, 16                     // coord0.1: coord0 += d0*sg0*VW + vc0
v_cmp_lt_u32 s[54:55], v10, s[sgprSizeI]           // coord0 < size0
v_cmp_lt_u32 s[58:59], v1, s[sgprSizeJ]            // coord1 < size1
s_and_b64 s[58:59], s[54:55], s[58:59]             // in0 && in1
_v_add_lshl_u32 v9, v2, v10, 0x0                   // scaleToBpe: accumulate d0 lower and *= bpe into Cin addr
v_cndmask_b32 v9, -1, v9, s[58:59]                 // LDC clip if OOB. offset
buffer_load_ubyte v17, v9, s[sgprSrdC:sgprSrdC+3], 0, offen offset:0 // load C for beta calc
_v_add_lshl_u32 v9, v3, v10, 0x0                   // scaleToBpe: accumulate d0 lower and *= bpe into Cin addr
v_cndmask_b32 v9, -1, v9, s[58:59]                 // LDD clip if OOB. offset
/* (d1,vc1,d0,vc0)=(0,0,2,1) */
_v_add_co_u32 v10, vcc, v0, 17                     // coord0.1: coord0 += d0*sg0*VW + vc0
v_cmp_lt_u32 s[54:55], v10, s[sgprSizeI]           // coord0 < size0
v_cmp_lt_u32 s[58:59], v1, s[sgprSizeJ]            // coord1 < size1
s_and_b64 s[58:59], s[54:55], s[58:59]             // in0 && in1
_v_add_lshl_u32 v19, v2, v10, 0x0                  // scaleToBpe: accumulate d0 lower and *= bpe into Cin addr
v_cndmask_b32 v19, -1, v19, s[58:59]               // LDC clip if OOB. offset
buffer_load_ubyte v20, v19, s[sgprSrdC:sgprSrdC+3], 0, offen offset:0 // load C for beta calc
_v_add_lshl_u32 v19, v3, v10, 0x0                  // scaleToBpe: accumulate d0 lower and *= bpe into Cin addr
v_cndmask_b32 v19, -1, v19, s[58:59]               // LDD clip if OOB. offset
/* (d1,vc1,d0,vc0)=(0,0,2,2) */
_v_add_co_u32 v10, vcc, v0, 18                     // coord0.1: coord0 += d0*sg0*VW + vc0
v_cmp_lt_u32 s[54:55], v10, s[sgprSizeI]           // coord0 < size0
v_cmp_lt_u32 s[58:59], v1, s[sgprSizeJ]            // coord1 < size1
s_and_b64 s[58:59], s[54:55], s[58:59]             // in0 && in1
_v_add_lshl_u32 v22, v2, v10, 0x0                  // scaleToBpe: accumulate d0 lower and *= bpe into Cin addr
v_cndmask_b32 v22, -1, v22, s[58:59]               // LDC clip if OOB. offset
buffer_load_ubyte v23, v22, s[sgprSrdC:sgprSrdC+3], 0, offen offset:0 // load C for beta calc
_v_add_lshl_u32 v22, v3, v10, 0x0                  // scaleToBpe: accumulate d0 lower and *= bpe into Cin addr
v_cndmask_b32 v22, -1, v22, s[58:59]               // LDD clip if OOB. offset
	;; [unrolled: 10-line block ×7, first 2 shown]
v_accvgpr_read_b32 v[vgprValuC+18], acc8 // copy acc to vreg[8]
v_accvgpr_read_b32 v[vgprValuC+21], acc9 // copy acc to vreg[9]
v_accvgpr_read_b32 v[vgprValuC+24], acc10 // copy acc to vreg[10]
v_accvgpr_read_b32 v[vgprValuC+27], acc11 // copy acc to vreg[11]
v_accvgpr_read_b32 v[vgprValuC+30], acc12 // copy acc to vreg[12]
v_accvgpr_read_b32 v[vgprValuC+33], acc13 // copy acc to vreg[13]
v_accvgpr_read_b32 v[vgprValuC+36], acc14 // copy acc to vreg[14]
v_accvgpr_read_b32 v[vgprValuC+39], acc15 // copy acc to vreg[15]
s_nop 1                                            // 2 wait states required before reading vgpr

/* rC *= alpha batchElements=[(0, 2, 0, 0), (0, 2, 0, 1), (0, 2, 0, 2), (0, 2, 0, 3), (0, 3, 0, 0), (0, 3, 0, 1), (0, 3, 0, 2), (0, 3, 0, 3)] */
v_mul_f32 v[vgprValuC+18], s[sgprAlpha], v[vgprValuC+18] // *= alpha
v_mul_f32 v[vgprValuC+21], s[sgprAlpha], v[vgprValuC+21] // *= alpha
v_mul_f32 v[vgprValuC+24], s[sgprAlpha], v[vgprValuC+24] // *= alpha
v_mul_f32 v[vgprValuC+27], s[sgprAlpha], v[vgprValuC+27] // *= alpha
v_mul_f32 v[vgprValuC+30], s[sgprAlpha], v[vgprValuC+30] // *= alpha
v_mul_f32 v[vgprValuC+33], s[sgprAlpha], v[vgprValuC+33] // *= alpha
v_mul_f32 v[vgprValuC+36], s[sgprAlpha], v[vgprValuC+36] // *= alpha
v_mul_f32 v[vgprValuC+39], s[sgprAlpha], v[vgprValuC+39] // *= alpha
s_waitcnt vmcnt(0)                                 // wait C

/* apply mask, calc new C and issue writes */
v_mov_b32 v16, 0x207                               // flag for Nan and +/- inf
v_mov_b32 v14, 0x43700000                          // save 240.0f as max for clipping
v_mov_b32 v15, 0xC3700000                          // save -240.0f as min for clipping
v_cvt_f32_fp8 v12, v17 src0_sel:BYTE_0   // convert fp8 in lo_byte[0] to f32
_v_mac_f32 v[vgprValuC+18], v12, s[sgprBeta]       // finalSum = sum*alpha + C*beta
v_cmp_class_f32 s[54:55], v[vgprValuC+18], v16     // check NaN and +/-INF
v_med3_f32 v12, v[vgprValuC+18], v14, v15          // Clipping f32 value if exceeds the limit
v_cndmask_b32 v12, v12, v[vgprValuC+18], s[54:55]  // 
v_cvt_pk_fp8_f32  v18, v12, v12                    // convert f32 accumulated values to fp8
ds_write_b8 v7, v18, offset:16                     // storeRemap lw
v_cvt_f32_fp8 v12, v20 src0_sel:BYTE_0   // convert fp8 in lo_byte[0] to f32
_v_mac_f32 v[vgprValuC+21], v12, s[sgprBeta]       // finalSum = sum*alpha + C*beta
v_cmp_class_f32 s[54:55], v[vgprValuC+21], v16     // check NaN and +/-INF
v_med3_f32 v12, v[vgprValuC+21], v14, v15          // Clipping f32 value if exceeds the limit
v_cndmask_b32 v12, v12, v[vgprValuC+21], s[54:55]  // 
v_cvt_pk_fp8_f32  v21, v12, v12                    // convert f32 accumulated values to fp8
ds_write_b8 v7, v21, offset:17                     // storeRemap lw
	;; [unrolled: 7-line block ×8, first 2 shown]
s_nop 0                                            // 1 wait state required when next inst writes vgprs held by previous dwordx4 store inst
/* optSingleColVgpr=0 optSharedColVgpr=0 optSGPRUsage=BufferLoad_Edge_Mask optSrdIncForRow=1 */

/******************************************/
/* Global Write Alpha Beta Edge Batch #2 (d1,d0,vc1,vc0) = */
/*    (0,4,0,0:vw1); (0,4,0,1:vw1); (0,4,0,2:vw1); (0,4,0,3:vw1); (0,5,0,0:vw1); (0,5,0,1:vw1); (0,5,0,2:vw1); (0,5,0,3:vw1) */
/******************************************/

/* calc coords, apply mask, and issue loads (if necessary) */
/* (d1,vc1,d0,vc0)=(0,0,4,0) */
s_mov_b32 s54, 128                                 // coordOffset0 d0=4 vc0=0
_v_add_co_u32 v10, vcc, v0, s54                    // coord0.2: coord0 += d0*sg0*VW + vc0
v_cmp_lt_u32 s[54:55], v10, s[sgprSizeI]           // coord0 < size0
v_cmp_lt_u32 s[58:59], v1, s[sgprSizeJ]            // coord1 < size1
s_and_b64 s[58:59], s[54:55], s[58:59]             // in0 && in1
_v_add_lshl_u32 v9, v2, v10, 0x0                   // scaleToBpe: accumulate d0 lower and *= bpe into Cin addr
v_cndmask_b32 v9, -1, v9, s[58:59]                 // LDC clip if OOB. offset
buffer_load_ubyte v17, v9, s[sgprSrdC:sgprSrdC+3], 0, offen offset:0 // load C for beta calc
_v_add_lshl_u32 v9, v3, v10, 0x0                   // scaleToBpe: accumulate d0 lower and *= bpe into Cin addr
v_cndmask_b32 v9, -1, v9, s[58:59]                 // LDD clip if OOB. offset
/* (d1,vc1,d0,vc0)=(0,0,4,1) */
s_mov_b32 s54, 129                                 // coordOffset0 d0=4 vc0=1
_v_add_co_u32 v10, vcc, v0, s54                    // coord0.2: coord0 += d0*sg0*VW + vc0
v_cmp_lt_u32 s[54:55], v10, s[sgprSizeI]           // coord0 < size0
v_cmp_lt_u32 s[58:59], v1, s[sgprSizeJ]            // coord1 < size1
s_and_b64 s[58:59], s[54:55], s[58:59]             // in0 && in1
_v_add_lshl_u32 v19, v2, v10, 0x0                  // scaleToBpe: accumulate d0 lower and *= bpe into Cin addr
v_cndmask_b32 v19, -1, v19, s[58:59]               // LDC clip if OOB. offset
buffer_load_ubyte v20, v19, s[sgprSrdC:sgprSrdC+3], 0, offen offset:0 // load C for beta calc
_v_add_lshl_u32 v19, v3, v10, 0x0                  // scaleToBpe: accumulate d0 lower and *= bpe into Cin addr
v_cndmask_b32 v19, -1, v19, s[58:59]               // LDD clip if OOB. offset
/* (d1,vc1,d0,vc0)=(0,0,4,2) */
s_mov_b32 s54, 130                                 // coordOffset0 d0=4 vc0=2
_v_add_co_u32 v10, vcc, v0, s54                    // coord0.2: coord0 += d0*sg0*VW + vc0
v_cmp_lt_u32 s[54:55], v10, s[sgprSizeI]           // coord0 < size0
v_cmp_lt_u32 s[58:59], v1, s[sgprSizeJ]            // coord1 < size1
s_and_b64 s[58:59], s[54:55], s[58:59]             // in0 && in1
_v_add_lshl_u32 v22, v2, v10, 0x0                  // scaleToBpe: accumulate d0 lower and *= bpe into Cin addr
v_cndmask_b32 v22, -1, v22, s[58:59]               // LDC clip if OOB. offset
buffer_load_ubyte v23, v22, s[sgprSrdC:sgprSrdC+3], 0, offen offset:0 // load C for beta calc
_v_add_lshl_u32 v22, v3, v10, 0x0                  // scaleToBpe: accumulate d0 lower and *= bpe into Cin addr
v_cndmask_b32 v22, -1, v22, s[58:59]               // LDD clip if OOB. offset
	;; [unrolled: 11-line block ×7, first 2 shown]
v_accvgpr_read_b32 v[vgprValuC+18], acc16 // copy acc to vreg[16]
v_accvgpr_read_b32 v[vgprValuC+21], acc17 // copy acc to vreg[17]
v_accvgpr_read_b32 v[vgprValuC+24], acc18 // copy acc to vreg[18]
v_accvgpr_read_b32 v[vgprValuC+27], acc19 // copy acc to vreg[19]
v_accvgpr_read_b32 v[vgprValuC+30], acc20 // copy acc to vreg[20]
v_accvgpr_read_b32 v[vgprValuC+33], acc21 // copy acc to vreg[21]
v_accvgpr_read_b32 v[vgprValuC+36], acc22 // copy acc to vreg[22]
v_accvgpr_read_b32 v[vgprValuC+39], acc23 // copy acc to vreg[23]
s_nop 1                                            // 2 wait states required before reading vgpr

/* rC *= alpha batchElements=[(0, 4, 0, 0), (0, 4, 0, 1), (0, 4, 0, 2), (0, 4, 0, 3), (0, 5, 0, 0), (0, 5, 0, 1), (0, 5, 0, 2), (0, 5, 0, 3)] */
v_mul_f32 v[vgprValuC+18], s[sgprAlpha], v[vgprValuC+18] // *= alpha
v_mul_f32 v[vgprValuC+21], s[sgprAlpha], v[vgprValuC+21] // *= alpha
	;; [unrolled: 1-line block ×8, first 2 shown]
s_waitcnt vmcnt(0)                                 // wait C

/* apply mask, calc new C and issue writes */
v_mov_b32 v16, 0x207                               // flag for Nan and +/- inf
v_mov_b32 v14, 0x43700000                          // save 240.0f as max for clipping
v_mov_b32 v15, 0xC3700000                          // save -240.0f as min for clipping
v_cvt_f32_fp8 v12, v17 src0_sel:BYTE_0   // convert fp8 in lo_byte[0] to f32
_v_mac_f32 v[vgprValuC+18], v12, s[sgprBeta]       // finalSum = sum*alpha + C*beta
v_cmp_class_f32 s[54:55], v[vgprValuC+18], v16     // check NaN and +/-INF
v_med3_f32 v12, v[vgprValuC+18], v14, v15          // Clipping f32 value if exceeds the limit
v_cndmask_b32 v12, v12, v[vgprValuC+18], s[54:55]  // 
v_cvt_pk_fp8_f32  v18, v12, v12                    // convert f32 accumulated values to fp8
ds_write_b8 v7, v18, offset:128                    // storeRemap lw
v_cvt_f32_fp8 v12, v20 src0_sel:BYTE_0   // convert fp8 in lo_byte[0] to f32
_v_mac_f32 v[vgprValuC+21], v12, s[sgprBeta]       // finalSum = sum*alpha + C*beta
v_cmp_class_f32 s[54:55], v[vgprValuC+21], v16     // check NaN and +/-INF
v_med3_f32 v12, v[vgprValuC+21], v14, v15          // Clipping f32 value if exceeds the limit
v_cndmask_b32 v12, v12, v[vgprValuC+21], s[54:55]  // 
v_cvt_pk_fp8_f32  v21, v12, v12                    // convert f32 accumulated values to fp8
ds_write_b8 v7, v21, offset:129                    // storeRemap lw
v_cvt_f32_fp8 v12, v23 src0_sel:BYTE_0   // convert fp8 in lo_byte[0] to f32
_v_mac_f32 v[vgprValuC+24], v12, s[sgprBeta]       // finalSum = sum*alpha + C*beta
v_cmp_class_f32 s[54:55], v[vgprValuC+24], v16     // check NaN and +/-INF
v_med3_f32 v12, v[vgprValuC+24], v14, v15          // Clipping f32 value if exceeds the limit
v_cndmask_b32 v12, v12, v[vgprValuC+24], s[54:55]  // 
v_cvt_pk_fp8_f32  v24, v12, v12                    // convert f32 accumulated values to fp8
ds_write_b8 v7, v24, offset:130                    // storeRemap lw
v_cvt_f32_fp8 v12, v26 src0_sel:BYTE_0   // convert fp8 in lo_byte[0] to f32
_v_mac_f32 v[vgprValuC+27], v12, s[sgprBeta]       // finalSum = sum*alpha + C*beta
v_cmp_class_f32 s[54:55], v[vgprValuC+27], v16     // check NaN and +/-INF
v_med3_f32 v12, v[vgprValuC+27], v14, v15          // Clipping f32 value if exceeds the limit
v_cndmask_b32 v12, v12, v[vgprValuC+27], s[54:55]  // 
v_cvt_pk_fp8_f32  v27, v12, v12                    // convert f32 accumulated values to fp8
ds_write_b8 v7, v27, offset:131                    // storeRemap lw
v_cvt_f32_fp8 v12, v29 src0_sel:BYTE_0   // convert fp8 in lo_byte[0] to f32
_v_mac_f32 v[vgprValuC+30], v12, s[sgprBeta]       // finalSum = sum*alpha + C*beta
v_cmp_class_f32 s[54:55], v[vgprValuC+30], v16     // check NaN and +/-INF
v_med3_f32 v12, v[vgprValuC+30], v14, v15          // Clipping f32 value if exceeds the limit
v_cndmask_b32 v12, v12, v[vgprValuC+30], s[54:55]  // 
v_cvt_pk_fp8_f32  v30, v12, v12                    // convert f32 accumulated values to fp8
ds_write_b8 v7, v30, offset:136                    // storeRemap lw
v_cvt_f32_fp8 v12, v32 src0_sel:BYTE_0   // convert fp8 in lo_byte[0] to f32
_v_mac_f32 v[vgprValuC+33], v12, s[sgprBeta]       // finalSum = sum*alpha + C*beta
v_cmp_class_f32 s[54:55], v[vgprValuC+33], v16     // check NaN and +/-INF
v_med3_f32 v12, v[vgprValuC+33], v14, v15          // Clipping f32 value if exceeds the limit
v_cndmask_b32 v12, v12, v[vgprValuC+33], s[54:55]  // 
v_cvt_pk_fp8_f32  v33, v12, v12                    // convert f32 accumulated values to fp8
ds_write_b8 v7, v33, offset:137                    // storeRemap lw
v_cvt_f32_fp8 v12, v35 src0_sel:BYTE_0   // convert fp8 in lo_byte[0] to f32
_v_mac_f32 v[vgprValuC+36], v12, s[sgprBeta]       // finalSum = sum*alpha + C*beta
v_cmp_class_f32 s[54:55], v[vgprValuC+36], v16     // check NaN and +/-INF
v_med3_f32 v12, v[vgprValuC+36], v14, v15          // Clipping f32 value if exceeds the limit
v_cndmask_b32 v12, v12, v[vgprValuC+36], s[54:55]  // 
v_cvt_pk_fp8_f32  v36, v12, v12                    // convert f32 accumulated values to fp8
ds_write_b8 v7, v36, offset:138                    // storeRemap lw
v_cvt_f32_fp8 v12, v38 src0_sel:BYTE_0   // convert fp8 in lo_byte[0] to f32
_v_mac_f32 v[vgprValuC+39], v12, s[sgprBeta]       // finalSum = sum*alpha + C*beta
v_cmp_class_f32 s[54:55], v[vgprValuC+39], v16     // check NaN and +/-INF
v_med3_f32 v12, v[vgprValuC+39], v14, v15          // Clipping f32 value if exceeds the limit
v_cndmask_b32 v12, v12, v[vgprValuC+39], s[54:55]  // 
v_cvt_pk_fp8_f32  v39, v12, v12                    // convert f32 accumulated values to fp8
ds_write_b8 v7, v39, offset:139                    // storeRemap lw
s_nop 0                                            // 1 wait state required when next inst writes vgprs held by previous dwordx4 store inst
/* optSingleColVgpr=0 optSharedColVgpr=0 optSGPRUsage=BufferLoad_Edge_Mask optSrdIncForRow=1 */

/******************************************/
/* Global Write Alpha Beta Edge Batch #3 (d1,d0,vc1,vc0) = */
/*    (0,6,0,0:vw1); (0,6,0,1:vw1); (0,6,0,2:vw1); (0,6,0,3:vw1); (0,7,0,0:vw1); (0,7,0,1:vw1); (0,7,0,2:vw1); (0,7,0,3:vw1) */
/******************************************/

/* calc coords, apply mask, and issue loads (if necessary) */
/* (d1,vc1,d0,vc0)=(0,0,6,0) */
s_mov_b32 s54, 144                                 // coordOffset0 d0=6 vc0=0
_v_add_co_u32 v10, vcc, v0, s54                    // coord0.2: coord0 += d0*sg0*VW + vc0
v_cmp_lt_u32 s[54:55], v10, s[sgprSizeI]           // coord0 < size0
v_cmp_lt_u32 s[58:59], v1, s[sgprSizeJ]            // coord1 < size1
s_and_b64 s[58:59], s[54:55], s[58:59]             // in0 && in1
_v_add_lshl_u32 v9, v2, v10, 0x0                   // scaleToBpe: accumulate d0 lower and *= bpe into Cin addr
v_cndmask_b32 v9, -1, v9, s[58:59]                 // LDC clip if OOB. offset
buffer_load_ubyte v17, v9, s[sgprSrdC:sgprSrdC+3], 0, offen offset:0 // load C for beta calc
_v_add_lshl_u32 v9, v3, v10, 0x0                   // scaleToBpe: accumulate d0 lower and *= bpe into Cin addr
v_cndmask_b32 v9, -1, v9, s[58:59]                 // LDD clip if OOB. offset
/* (d1,vc1,d0,vc0)=(0,0,6,1) */
s_mov_b32 s54, 145                                 // coordOffset0 d0=6 vc0=1
_v_add_co_u32 v10, vcc, v0, s54                    // coord0.2: coord0 += d0*sg0*VW + vc0
v_cmp_lt_u32 s[54:55], v10, s[sgprSizeI]           // coord0 < size0
v_cmp_lt_u32 s[58:59], v1, s[sgprSizeJ]            // coord1 < size1
s_and_b64 s[58:59], s[54:55], s[58:59]             // in0 && in1
_v_add_lshl_u32 v19, v2, v10, 0x0                  // scaleToBpe: accumulate d0 lower and *= bpe into Cin addr
v_cndmask_b32 v19, -1, v19, s[58:59]               // LDC clip if OOB. offset
buffer_load_ubyte v20, v19, s[sgprSrdC:sgprSrdC+3], 0, offen offset:0 // load C for beta calc
_v_add_lshl_u32 v19, v3, v10, 0x0                  // scaleToBpe: accumulate d0 lower and *= bpe into Cin addr
v_cndmask_b32 v19, -1, v19, s[58:59]               // LDD clip if OOB. offset
/* (d1,vc1,d0,vc0)=(0,0,6,2) */
s_mov_b32 s54, 146                                 // coordOffset0 d0=6 vc0=2
_v_add_co_u32 v10, vcc, v0, s54                    // coord0.2: coord0 += d0*sg0*VW + vc0
v_cmp_lt_u32 s[54:55], v10, s[sgprSizeI]           // coord0 < size0
v_cmp_lt_u32 s[58:59], v1, s[sgprSizeJ]            // coord1 < size1
s_and_b64 s[58:59], s[54:55], s[58:59]             // in0 && in1
_v_add_lshl_u32 v22, v2, v10, 0x0                  // scaleToBpe: accumulate d0 lower and *= bpe into Cin addr
v_cndmask_b32 v22, -1, v22, s[58:59]               // LDC clip if OOB. offset
buffer_load_ubyte v23, v22, s[sgprSrdC:sgprSrdC+3], 0, offen offset:0 // load C for beta calc
_v_add_lshl_u32 v22, v3, v10, 0x0                  // scaleToBpe: accumulate d0 lower and *= bpe into Cin addr
v_cndmask_b32 v22, -1, v22, s[58:59]               // LDD clip if OOB. offset
	;; [unrolled: 11-line block ×7, first 2 shown]
v_accvgpr_read_b32 v[vgprValuC+18], acc24 // copy acc to vreg[24]
v_accvgpr_read_b32 v[vgprValuC+21], acc25 // copy acc to vreg[25]
v_accvgpr_read_b32 v[vgprValuC+24], acc26 // copy acc to vreg[26]
v_accvgpr_read_b32 v[vgprValuC+27], acc27 // copy acc to vreg[27]
v_accvgpr_read_b32 v[vgprValuC+30], acc28 // copy acc to vreg[28]
v_accvgpr_read_b32 v[vgprValuC+33], acc29 // copy acc to vreg[29]
v_accvgpr_read_b32 v[vgprValuC+36], acc30 // copy acc to vreg[30]
v_accvgpr_read_b32 v[vgprValuC+39], acc31 // copy acc to vreg[31]
s_nop 1                                            // 2 wait states required before reading vgpr

/* rC *= alpha batchElements=[(0, 6, 0, 0), (0, 6, 0, 1), (0, 6, 0, 2), (0, 6, 0, 3), (0, 7, 0, 0), (0, 7, 0, 1), (0, 7, 0, 2), (0, 7, 0, 3)] */
v_mul_f32 v[vgprValuC+18], s[sgprAlpha], v[vgprValuC+18] // *= alpha
v_mul_f32 v[vgprValuC+21], s[sgprAlpha], v[vgprValuC+21] // *= alpha
	;; [unrolled: 1-line block ×8, first 2 shown]
s_waitcnt vmcnt(0)                                 // wait C

/* apply mask, calc new C and issue writes */
v_mov_b32 v16, 0x207                               // flag for Nan and +/- inf
v_mov_b32 v14, 0x43700000                          // save 240.0f as max for clipping
v_mov_b32 v15, 0xC3700000                          // save -240.0f as min for clipping
v_cvt_f32_fp8 v12, v17 src0_sel:BYTE_0   // convert fp8 in lo_byte[0] to f32
_v_mac_f32 v[vgprValuC+18], v12, s[sgprBeta]       // finalSum = sum*alpha + C*beta
v_cmp_class_f32 s[54:55], v[vgprValuC+18], v16     // check NaN and +/-INF
v_med3_f32 v12, v[vgprValuC+18], v14, v15          // Clipping f32 value if exceeds the limit
v_cndmask_b32 v12, v12, v[vgprValuC+18], s[54:55]  // 
v_cvt_pk_fp8_f32  v18, v12, v12                    // convert f32 accumulated values to fp8
ds_write_b8 v7, v18, offset:144                    // storeRemap lw
v_cvt_f32_fp8 v12, v20 src0_sel:BYTE_0   // convert fp8 in lo_byte[0] to f32
_v_mac_f32 v[vgprValuC+21], v12, s[sgprBeta]       // finalSum = sum*alpha + C*beta
v_cmp_class_f32 s[54:55], v[vgprValuC+21], v16     // check NaN and +/-INF
v_med3_f32 v12, v[vgprValuC+21], v14, v15          // Clipping f32 value if exceeds the limit
v_cndmask_b32 v12, v12, v[vgprValuC+21], s[54:55]  // 
v_cvt_pk_fp8_f32  v21, v12, v12                    // convert f32 accumulated values to fp8
ds_write_b8 v7, v21, offset:145                    // storeRemap lw
v_cvt_f32_fp8 v12, v23 src0_sel:BYTE_0   // convert fp8 in lo_byte[0] to f32
_v_mac_f32 v[vgprValuC+24], v12, s[sgprBeta]       // finalSum = sum*alpha + C*beta
v_cmp_class_f32 s[54:55], v[vgprValuC+24], v16     // check NaN and +/-INF
v_med3_f32 v12, v[vgprValuC+24], v14, v15          // Clipping f32 value if exceeds the limit
v_cndmask_b32 v12, v12, v[vgprValuC+24], s[54:55]  // 
v_cvt_pk_fp8_f32  v24, v12, v12                    // convert f32 accumulated values to fp8
ds_write_b8 v7, v24, offset:146                    // storeRemap lw
v_cvt_f32_fp8 v12, v26 src0_sel:BYTE_0   // convert fp8 in lo_byte[0] to f32
_v_mac_f32 v[vgprValuC+27], v12, s[sgprBeta]       // finalSum = sum*alpha + C*beta
v_cmp_class_f32 s[54:55], v[vgprValuC+27], v16     // check NaN and +/-INF
v_med3_f32 v12, v[vgprValuC+27], v14, v15          // Clipping f32 value if exceeds the limit
v_cndmask_b32 v12, v12, v[vgprValuC+27], s[54:55]  // 
v_cvt_pk_fp8_f32  v27, v12, v12                    // convert f32 accumulated values to fp8
ds_write_b8 v7, v27, offset:147                    // storeRemap lw
v_cvt_f32_fp8 v12, v29 src0_sel:BYTE_0   // convert fp8 in lo_byte[0] to f32
_v_mac_f32 v[vgprValuC+30], v12, s[sgprBeta]       // finalSum = sum*alpha + C*beta
v_cmp_class_f32 s[54:55], v[vgprValuC+30], v16     // check NaN and +/-INF
v_med3_f32 v12, v[vgprValuC+30], v14, v15          // Clipping f32 value if exceeds the limit
v_cndmask_b32 v12, v12, v[vgprValuC+30], s[54:55]  // 
v_cvt_pk_fp8_f32  v30, v12, v12                    // convert f32 accumulated values to fp8
ds_write_b8 v7, v30, offset:152                    // storeRemap lw
v_cvt_f32_fp8 v12, v32 src0_sel:BYTE_0   // convert fp8 in lo_byte[0] to f32
_v_mac_f32 v[vgprValuC+33], v12, s[sgprBeta]       // finalSum = sum*alpha + C*beta
v_cmp_class_f32 s[54:55], v[vgprValuC+33], v16     // check NaN and +/-INF
v_med3_f32 v12, v[vgprValuC+33], v14, v15          // Clipping f32 value if exceeds the limit
v_cndmask_b32 v12, v12, v[vgprValuC+33], s[54:55]  // 
v_cvt_pk_fp8_f32  v33, v12, v12                    // convert f32 accumulated values to fp8
ds_write_b8 v7, v33, offset:153                    // storeRemap lw
v_cvt_f32_fp8 v12, v35 src0_sel:BYTE_0   // convert fp8 in lo_byte[0] to f32
_v_mac_f32 v[vgprValuC+36], v12, s[sgprBeta]       // finalSum = sum*alpha + C*beta
v_cmp_class_f32 s[54:55], v[vgprValuC+36], v16     // check NaN and +/-INF
v_med3_f32 v12, v[vgprValuC+36], v14, v15          // Clipping f32 value if exceeds the limit
v_cndmask_b32 v12, v12, v[vgprValuC+36], s[54:55]  // 
v_cvt_pk_fp8_f32  v36, v12, v12                    // convert f32 accumulated values to fp8
ds_write_b8 v7, v36, offset:154                    // storeRemap lw
v_cvt_f32_fp8 v12, v38 src0_sel:BYTE_0   // convert fp8 in lo_byte[0] to f32
_v_mac_f32 v[vgprValuC+39], v12, s[sgprBeta]       // finalSum = sum*alpha + C*beta
v_cmp_class_f32 s[54:55], v[vgprValuC+39], v16     // check NaN and +/-INF
v_med3_f32 v12, v[vgprValuC+39], v14, v15          // Clipping f32 value if exceeds the limit
v_cndmask_b32 v12, v12, v[vgprValuC+39], s[54:55]  // 
v_cvt_pk_fp8_f32  v39, v12, v12                    // convert f32 accumulated values to fp8
ds_write_b8 v7, v39, offset:155                    // storeRemap lw

/* Handle local read and global write */
s_waitcnt lgkmcnt(0)                               // wait for LDS write
s_barrier //wait all lds write finished

_ds_load_b128 v[20:23], v8, offset:0               // storeRemap lr
_ds_load_b128 v[24:27], v8, offset:1088            // storeRemap lr

s_waitcnt lgkmcnt(1)                               // wait for LDS read
_v_add_u32 v11, v5, 0                              // coord1 += nColPerLoad
_v_add_u32 v10, v4, 0                              // coord0 += element index of load vector
_v_add_u32 v9, v6, 0                               // offset coord1 += nColPerLoad
v_cmp_lt_u32 s[54:55], v10, s[sgprSizeI]           // coord0 < size0
v_cmp_lt_u32 s[56:57], v11, s[sgprSizeJ]           // coord1 < size1
s_and_b64 s[56:57], s[54:55], s[56:57]             // in0 && in1
v_mul_lo_u32 v9, v9, s[sgprStrideD1J]              // coord1 element offset =  coord1 * StrideD
_v_add_lshl_u32 v9, v9, v10, 0x0                   // scale to BPE
v_cndmask_b32 v9, -1, v9, s[56:57]                 // clip if OOB. offset
buffer_store_byte v20, v9, s[sgprSrdD:sgprSrdD+3], 0, offen, offset:0 // store D
_v_add_u32 v11, v5, 0                              // coord1 += nColPerLoad
_v_add_u32 v10, v4, 1                              // coord0 += element index of load vector
_v_add_u32 v9, v6, 0                               // offset coord1 += nColPerLoad
v_cmp_lt_u32 s[54:55], v10, s[sgprSizeI]           // coord0 < size0
v_cmp_lt_u32 s[56:57], v11, s[sgprSizeJ]           // coord1 < size1
s_and_b64 s[56:57], s[54:55], s[56:57]             // in0 && in1
v_mul_lo_u32 v9, v9, s[sgprStrideD1J]              // coord1 element offset =  coord1 * StrideD
_v_add_lshl_u32 v9, v9, v10, 0x0                   // scale to BPE
v_cndmask_b32 v9, -1, v9, s[56:57]                 // clip if OOB. offset
v_lshrrev_b32 v17, 8, v20                          // vGWTmp = src >> 8
buffer_store_byte v17, v9, s[sgprSrdD:sgprSrdD+3], 0, offen, offset:0 // store D
_v_add_u32 v11, v5, 0                              // coord1 += nColPerLoad
_v_add_u32 v10, v4, 2                              // coord0 += element index of load vector
_v_add_u32 v9, v6, 0                               // offset coord1 += nColPerLoad
v_cmp_lt_u32 s[54:55], v10, s[sgprSizeI]           // coord0 < size0
v_cmp_lt_u32 s[56:57], v11, s[sgprSizeJ]           // coord1 < size1
s_and_b64 s[56:57], s[54:55], s[56:57]             // in0 && in1
v_mul_lo_u32 v9, v9, s[sgprStrideD1J]              // coord1 element offset =  coord1 * StrideD
_v_add_lshl_u32 v9, v9, v10, 0x0                   // scale to BPE
v_cndmask_b32 v9, -1, v9, s[56:57]                 // clip if OOB. offset
buffer_store_byte_d16_hi v20, v9, s[sgprSrdD:sgprSrdD+3], 0, offen, offset:0 // store D
_v_add_u32 v11, v5, 0                              // coord1 += nColPerLoad
_v_add_u32 v10, v4, 3                              // coord0 += element index of load vector
_v_add_u32 v9, v6, 0                               // offset coord1 += nColPerLoad
v_cmp_lt_u32 s[54:55], v10, s[sgprSizeI]           // coord0 < size0
v_cmp_lt_u32 s[56:57], v11, s[sgprSizeJ]           // coord1 < size1
s_and_b64 s[56:57], s[54:55], s[56:57]             // in0 && in1
v_mul_lo_u32 v9, v9, s[sgprStrideD1J]              // coord1 element offset =  coord1 * StrideD
_v_add_lshl_u32 v9, v9, v10, 0x0                   // scale to BPE
v_cndmask_b32 v9, -1, v9, s[56:57]                 // clip if OOB. offset
v_lshrrev_b32 v17, 8, v20                          // vGWTmp = src >> 8
buffer_store_byte_d16_hi v17, v9, s[sgprSrdD:sgprSrdD+3], 0, offen, offset:0 // store D
_v_add_u32 v11, v5, 0                              // coord1 += nColPerLoad
_v_add_u32 v10, v4, 4                              // coord0 += element index of load vector
_v_add_u32 v9, v6, 0                               // offset coord1 += nColPerLoad
v_cmp_lt_u32 s[54:55], v10, s[sgprSizeI]           // coord0 < size0
v_cmp_lt_u32 s[56:57], v11, s[sgprSizeJ]           // coord1 < size1
s_and_b64 s[56:57], s[54:55], s[56:57]             // in0 && in1
v_mul_lo_u32 v9, v9, s[sgprStrideD1J]              // coord1 element offset =  coord1 * StrideD
_v_add_lshl_u32 v9, v9, v10, 0x0                   // scale to BPE
v_cndmask_b32 v9, -1, v9, s[56:57]                 // clip if OOB. offset
buffer_store_byte v21, v9, s[sgprSrdD:sgprSrdD+3], 0, offen, offset:0 // store D
_v_add_u32 v11, v5, 0                              // coord1 += nColPerLoad
_v_add_u32 v10, v4, 5                              // coord0 += element index of load vector
_v_add_u32 v9, v6, 0                               // offset coord1 += nColPerLoad
v_cmp_lt_u32 s[54:55], v10, s[sgprSizeI]           // coord0 < size0
v_cmp_lt_u32 s[56:57], v11, s[sgprSizeJ]           // coord1 < size1
s_and_b64 s[56:57], s[54:55], s[56:57]             // in0 && in1
v_mul_lo_u32 v9, v9, s[sgprStrideD1J]              // coord1 element offset =  coord1 * StrideD
_v_add_lshl_u32 v9, v9, v10, 0x0                   // scale to BPE
v_cndmask_b32 v9, -1, v9, s[56:57]                 // clip if OOB. offset
v_lshrrev_b32 v17, 8, v21                          // vGWTmp = src >> 8
buffer_store_byte v17, v9, s[sgprSrdD:sgprSrdD+3], 0, offen, offset:0 // store D
_v_add_u32 v11, v5, 0                              // coord1 += nColPerLoad
_v_add_u32 v10, v4, 6                              // coord0 += element index of load vector
_v_add_u32 v9, v6, 0                               // offset coord1 += nColPerLoad
v_cmp_lt_u32 s[54:55], v10, s[sgprSizeI]           // coord0 < size0
v_cmp_lt_u32 s[56:57], v11, s[sgprSizeJ]           // coord1 < size1
s_and_b64 s[56:57], s[54:55], s[56:57]             // in0 && in1
v_mul_lo_u32 v9, v9, s[sgprStrideD1J]              // coord1 element offset =  coord1 * StrideD
_v_add_lshl_u32 v9, v9, v10, 0x0                   // scale to BPE
v_cndmask_b32 v9, -1, v9, s[56:57]                 // clip if OOB. offset
buffer_store_byte_d16_hi v21, v9, s[sgprSrdD:sgprSrdD+3], 0, offen, offset:0 // store D
_v_add_u32 v11, v5, 0                              // coord1 += nColPerLoad
_v_add_u32 v10, v4, 7                              // coord0 += element index of load vector
_v_add_u32 v9, v6, 0                               // offset coord1 += nColPerLoad
v_cmp_lt_u32 s[54:55], v10, s[sgprSizeI]           // coord0 < size0
v_cmp_lt_u32 s[56:57], v11, s[sgprSizeJ]           // coord1 < size1
s_and_b64 s[56:57], s[54:55], s[56:57]             // in0 && in1
v_mul_lo_u32 v9, v9, s[sgprStrideD1J]              // coord1 element offset =  coord1 * StrideD
_v_add_lshl_u32 v9, v9, v10, 0x0                   // scale to BPE
v_cndmask_b32 v9, -1, v9, s[56:57]                 // clip if OOB. offset
v_lshrrev_b32 v17, 8, v21                          // vGWTmp = src >> 8
buffer_store_byte_d16_hi v17, v9, s[sgprSrdD:sgprSrdD+3], 0, offen, offset:0 // store D
_v_add_u32 v11, v5, 0                              // coord1 += nColPerLoad
_v_add_u32 v10, v4, 8                              // coord0 += element index of load vector
_v_add_u32 v9, v6, 0                               // offset coord1 += nColPerLoad
v_cmp_lt_u32 s[54:55], v10, s[sgprSizeI]           // coord0 < size0
v_cmp_lt_u32 s[56:57], v11, s[sgprSizeJ]           // coord1 < size1
s_and_b64 s[56:57], s[54:55], s[56:57]             // in0 && in1
v_mul_lo_u32 v9, v9, s[sgprStrideD1J]              // coord1 element offset =  coord1 * StrideD
_v_add_lshl_u32 v9, v9, v10, 0x0                   // scale to BPE
v_cndmask_b32 v9, -1, v9, s[56:57]                 // clip if OOB. offset
buffer_store_byte v22, v9, s[sgprSrdD:sgprSrdD+3], 0, offen, offset:0 // store D
_v_add_u32 v11, v5, 0                              // coord1 += nColPerLoad
_v_add_u32 v10, v4, 9                              // coord0 += element index of load vector
_v_add_u32 v9, v6, 0                               // offset coord1 += nColPerLoad
v_cmp_lt_u32 s[54:55], v10, s[sgprSizeI]           // coord0 < size0
v_cmp_lt_u32 s[56:57], v11, s[sgprSizeJ]           // coord1 < size1
s_and_b64 s[56:57], s[54:55], s[56:57]             // in0 && in1
v_mul_lo_u32 v9, v9, s[sgprStrideD1J]              // coord1 element offset =  coord1 * StrideD
_v_add_lshl_u32 v9, v9, v10, 0x0                   // scale to BPE
v_cndmask_b32 v9, -1, v9, s[56:57]                 // clip if OOB. offset
v_lshrrev_b32 v17, 8, v22                          // vGWTmp = src >> 8
buffer_store_byte v17, v9, s[sgprSrdD:sgprSrdD+3], 0, offen, offset:0 // store D
_v_add_u32 v11, v5, 0                              // coord1 += nColPerLoad
_v_add_u32 v10, v4, 10                             // coord0 += element index of load vector
_v_add_u32 v9, v6, 0                               // offset coord1 += nColPerLoad
v_cmp_lt_u32 s[54:55], v10, s[sgprSizeI]           // coord0 < size0
v_cmp_lt_u32 s[56:57], v11, s[sgprSizeJ]           // coord1 < size1
s_and_b64 s[56:57], s[54:55], s[56:57]             // in0 && in1
v_mul_lo_u32 v9, v9, s[sgprStrideD1J]              // coord1 element offset =  coord1 * StrideD
_v_add_lshl_u32 v9, v9, v10, 0x0                   // scale to BPE
v_cndmask_b32 v9, -1, v9, s[56:57]                 // clip if OOB. offset
buffer_store_byte_d16_hi v22, v9, s[sgprSrdD:sgprSrdD+3], 0, offen, offset:0 // store D
_v_add_u32 v11, v5, 0                              // coord1 += nColPerLoad
_v_add_u32 v10, v4, 11                             // coord0 += element index of load vector
_v_add_u32 v9, v6, 0                               // offset coord1 += nColPerLoad
v_cmp_lt_u32 s[54:55], v10, s[sgprSizeI]           // coord0 < size0
v_cmp_lt_u32 s[56:57], v11, s[sgprSizeJ]           // coord1 < size1
s_and_b64 s[56:57], s[54:55], s[56:57]             // in0 && in1
v_mul_lo_u32 v9, v9, s[sgprStrideD1J]              // coord1 element offset =  coord1 * StrideD
_v_add_lshl_u32 v9, v9, v10, 0x0                   // scale to BPE
v_cndmask_b32 v9, -1, v9, s[56:57]                 // clip if OOB. offset
v_lshrrev_b32 v17, 8, v22                          // vGWTmp = src >> 8
buffer_store_byte_d16_hi v17, v9, s[sgprSrdD:sgprSrdD+3], 0, offen, offset:0 // store D
_v_add_u32 v11, v5, 0                              // coord1 += nColPerLoad
_v_add_u32 v10, v4, 12                             // coord0 += element index of load vector
_v_add_u32 v9, v6, 0                               // offset coord1 += nColPerLoad
v_cmp_lt_u32 s[54:55], v10, s[sgprSizeI]           // coord0 < size0
v_cmp_lt_u32 s[56:57], v11, s[sgprSizeJ]           // coord1 < size1
s_and_b64 s[56:57], s[54:55], s[56:57]             // in0 && in1
v_mul_lo_u32 v9, v9, s[sgprStrideD1J]              // coord1 element offset =  coord1 * StrideD
_v_add_lshl_u32 v9, v9, v10, 0x0                   // scale to BPE
v_cndmask_b32 v9, -1, v9, s[56:57]                 // clip if OOB. offset
buffer_store_byte v23, v9, s[sgprSrdD:sgprSrdD+3], 0, offen, offset:0 // store D
_v_add_u32 v11, v5, 0                              // coord1 += nColPerLoad
_v_add_u32 v10, v4, 13                             // coord0 += element index of load vector
_v_add_u32 v9, v6, 0                               // offset coord1 += nColPerLoad
v_cmp_lt_u32 s[54:55], v10, s[sgprSizeI]           // coord0 < size0
v_cmp_lt_u32 s[56:57], v11, s[sgprSizeJ]           // coord1 < size1
s_and_b64 s[56:57], s[54:55], s[56:57]             // in0 && in1
v_mul_lo_u32 v9, v9, s[sgprStrideD1J]              // coord1 element offset =  coord1 * StrideD
_v_add_lshl_u32 v9, v9, v10, 0x0                   // scale to BPE
v_cndmask_b32 v9, -1, v9, s[56:57]                 // clip if OOB. offset
v_lshrrev_b32 v17, 8, v23                          // vGWTmp = src >> 8
buffer_store_byte v17, v9, s[sgprSrdD:sgprSrdD+3], 0, offen, offset:0 // store D
_v_add_u32 v11, v5, 0                              // coord1 += nColPerLoad
_v_add_u32 v10, v4, 14                             // coord0 += element index of load vector
_v_add_u32 v9, v6, 0                               // offset coord1 += nColPerLoad
v_cmp_lt_u32 s[54:55], v10, s[sgprSizeI]           // coord0 < size0
v_cmp_lt_u32 s[56:57], v11, s[sgprSizeJ]           // coord1 < size1
s_and_b64 s[56:57], s[54:55], s[56:57]             // in0 && in1
v_mul_lo_u32 v9, v9, s[sgprStrideD1J]              // coord1 element offset =  coord1 * StrideD
_v_add_lshl_u32 v9, v9, v10, 0x0                   // scale to BPE
v_cndmask_b32 v9, -1, v9, s[56:57]                 // clip if OOB. offset
buffer_store_byte_d16_hi v23, v9, s[sgprSrdD:sgprSrdD+3], 0, offen, offset:0 // store D
_v_add_u32 v11, v5, 0                              // coord1 += nColPerLoad
_v_add_u32 v10, v4, 15                             // coord0 += element index of load vector
_v_add_u32 v9, v6, 0                               // offset coord1 += nColPerLoad
v_cmp_lt_u32 s[54:55], v10, s[sgprSizeI]           // coord0 < size0
v_cmp_lt_u32 s[56:57], v11, s[sgprSizeJ]           // coord1 < size1
s_and_b64 s[56:57], s[54:55], s[56:57]             // in0 && in1
v_mul_lo_u32 v9, v9, s[sgprStrideD1J]              // coord1 element offset =  coord1 * StrideD
_v_add_lshl_u32 v9, v9, v10, 0x0                   // scale to BPE
v_cndmask_b32 v9, -1, v9, s[56:57]                 // clip if OOB. offset
v_lshrrev_b32 v17, 8, v23                          // vGWTmp = src >> 8
buffer_store_byte_d16_hi v17, v9, s[sgprSrdD:sgprSrdD+3], 0, offen, offset:0 // store D
s_waitcnt lgkmcnt(0)                               // wait for LDS read
_v_add_u32 v11, v5, 4                              // coord1 += nColPerLoad
_v_add_u32 v10, v4, 0                              // coord0 += element index of load vector
_v_add_u32 v9, v6, 4                               // offset coord1 += nColPerLoad
v_cmp_lt_u32 s[54:55], v10, s[sgprSizeI]           // coord0 < size0
v_cmp_lt_u32 s[56:57], v11, s[sgprSizeJ]           // coord1 < size1
s_and_b64 s[56:57], s[54:55], s[56:57]             // in0 && in1
v_mul_lo_u32 v9, v9, s[sgprStrideD1J]              // coord1 element offset =  coord1 * StrideD
_v_add_lshl_u32 v9, v9, v10, 0x0                   // scale to BPE
v_cndmask_b32 v9, -1, v9, s[56:57]                 // clip if OOB. offset
buffer_store_byte v24, v9, s[sgprSrdD:sgprSrdD+3], 0, offen, offset:0 // store D
_v_add_u32 v11, v5, 4                              // coord1 += nColPerLoad
_v_add_u32 v10, v4, 1                              // coord0 += element index of load vector
_v_add_u32 v9, v6, 4                               // offset coord1 += nColPerLoad
v_cmp_lt_u32 s[54:55], v10, s[sgprSizeI]           // coord0 < size0
v_cmp_lt_u32 s[56:57], v11, s[sgprSizeJ]           // coord1 < size1
s_and_b64 s[56:57], s[54:55], s[56:57]             // in0 && in1
v_mul_lo_u32 v9, v9, s[sgprStrideD1J]              // coord1 element offset =  coord1 * StrideD
_v_add_lshl_u32 v9, v9, v10, 0x0                   // scale to BPE
v_cndmask_b32 v9, -1, v9, s[56:57]                 // clip if OOB. offset
v_lshrrev_b32 v17, 8, v24                          // vGWTmp = src >> 8
buffer_store_byte v17, v9, s[sgprSrdD:sgprSrdD+3], 0, offen, offset:0 // store D
_v_add_u32 v11, v5, 4                              // coord1 += nColPerLoad
_v_add_u32 v10, v4, 2                              // coord0 += element index of load vector
_v_add_u32 v9, v6, 4                               // offset coord1 += nColPerLoad
v_cmp_lt_u32 s[54:55], v10, s[sgprSizeI]           // coord0 < size0
v_cmp_lt_u32 s[56:57], v11, s[sgprSizeJ]           // coord1 < size1
s_and_b64 s[56:57], s[54:55], s[56:57]             // in0 && in1
v_mul_lo_u32 v9, v9, s[sgprStrideD1J]              // coord1 element offset =  coord1 * StrideD
_v_add_lshl_u32 v9, v9, v10, 0x0                   // scale to BPE
v_cndmask_b32 v9, -1, v9, s[56:57]                 // clip if OOB. offset
buffer_store_byte_d16_hi v24, v9, s[sgprSrdD:sgprSrdD+3], 0, offen, offset:0 // store D
_v_add_u32 v11, v5, 4                              // coord1 += nColPerLoad
_v_add_u32 v10, v4, 3                              // coord0 += element index of load vector
_v_add_u32 v9, v6, 4                               // offset coord1 += nColPerLoad
v_cmp_lt_u32 s[54:55], v10, s[sgprSizeI]           // coord0 < size0
v_cmp_lt_u32 s[56:57], v11, s[sgprSizeJ]           // coord1 < size1
s_and_b64 s[56:57], s[54:55], s[56:57]             // in0 && in1
v_mul_lo_u32 v9, v9, s[sgprStrideD1J]              // coord1 element offset =  coord1 * StrideD
_v_add_lshl_u32 v9, v9, v10, 0x0                   // scale to BPE
v_cndmask_b32 v9, -1, v9, s[56:57]                 // clip if OOB. offset
v_lshrrev_b32 v17, 8, v24                          // vGWTmp = src >> 8
buffer_store_byte_d16_hi v17, v9, s[sgprSrdD:sgprSrdD+3], 0, offen, offset:0 // store D
_v_add_u32 v11, v5, 4                              // coord1 += nColPerLoad
_v_add_u32 v10, v4, 4                              // coord0 += element index of load vector
_v_add_u32 v9, v6, 4                               // offset coord1 += nColPerLoad
v_cmp_lt_u32 s[54:55], v10, s[sgprSizeI]           // coord0 < size0
v_cmp_lt_u32 s[56:57], v11, s[sgprSizeJ]           // coord1 < size1
s_and_b64 s[56:57], s[54:55], s[56:57]             // in0 && in1
v_mul_lo_u32 v9, v9, s[sgprStrideD1J]              // coord1 element offset =  coord1 * StrideD
_v_add_lshl_u32 v9, v9, v10, 0x0                   // scale to BPE
v_cndmask_b32 v9, -1, v9, s[56:57]                 // clip if OOB. offset
buffer_store_byte v25, v9, s[sgprSrdD:sgprSrdD+3], 0, offen, offset:0 // store D
_v_add_u32 v11, v5, 4                              // coord1 += nColPerLoad
_v_add_u32 v10, v4, 5                              // coord0 += element index of load vector
_v_add_u32 v9, v6, 4                               // offset coord1 += nColPerLoad
v_cmp_lt_u32 s[54:55], v10, s[sgprSizeI]           // coord0 < size0
v_cmp_lt_u32 s[56:57], v11, s[sgprSizeJ]           // coord1 < size1
s_and_b64 s[56:57], s[54:55], s[56:57]             // in0 && in1
v_mul_lo_u32 v9, v9, s[sgprStrideD1J]              // coord1 element offset =  coord1 * StrideD
_v_add_lshl_u32 v9, v9, v10, 0x0                   // scale to BPE
v_cndmask_b32 v9, -1, v9, s[56:57]                 // clip if OOB. offset
v_lshrrev_b32 v17, 8, v25                          // vGWTmp = src >> 8
buffer_store_byte v17, v9, s[sgprSrdD:sgprSrdD+3], 0, offen, offset:0 // store D
_v_add_u32 v11, v5, 4                              // coord1 += nColPerLoad
_v_add_u32 v10, v4, 6                              // coord0 += element index of load vector
_v_add_u32 v9, v6, 4                               // offset coord1 += nColPerLoad
v_cmp_lt_u32 s[54:55], v10, s[sgprSizeI]           // coord0 < size0
v_cmp_lt_u32 s[56:57], v11, s[sgprSizeJ]           // coord1 < size1
s_and_b64 s[56:57], s[54:55], s[56:57]             // in0 && in1
v_mul_lo_u32 v9, v9, s[sgprStrideD1J]              // coord1 element offset =  coord1 * StrideD
_v_add_lshl_u32 v9, v9, v10, 0x0                   // scale to BPE
v_cndmask_b32 v9, -1, v9, s[56:57]                 // clip if OOB. offset
buffer_store_byte_d16_hi v25, v9, s[sgprSrdD:sgprSrdD+3], 0, offen, offset:0 // store D
_v_add_u32 v11, v5, 4                              // coord1 += nColPerLoad
_v_add_u32 v10, v4, 7                              // coord0 += element index of load vector
_v_add_u32 v9, v6, 4                               // offset coord1 += nColPerLoad
v_cmp_lt_u32 s[54:55], v10, s[sgprSizeI]           // coord0 < size0
v_cmp_lt_u32 s[56:57], v11, s[sgprSizeJ]           // coord1 < size1
s_and_b64 s[56:57], s[54:55], s[56:57]             // in0 && in1
v_mul_lo_u32 v9, v9, s[sgprStrideD1J]              // coord1 element offset =  coord1 * StrideD
_v_add_lshl_u32 v9, v9, v10, 0x0                   // scale to BPE
v_cndmask_b32 v9, -1, v9, s[56:57]                 // clip if OOB. offset
v_lshrrev_b32 v17, 8, v25                          // vGWTmp = src >> 8
buffer_store_byte_d16_hi v17, v9, s[sgprSrdD:sgprSrdD+3], 0, offen, offset:0 // store D
_v_add_u32 v11, v5, 4                              // coord1 += nColPerLoad
_v_add_u32 v10, v4, 8                              // coord0 += element index of load vector
_v_add_u32 v9, v6, 4                               // offset coord1 += nColPerLoad
v_cmp_lt_u32 s[54:55], v10, s[sgprSizeI]           // coord0 < size0
v_cmp_lt_u32 s[56:57], v11, s[sgprSizeJ]           // coord1 < size1
s_and_b64 s[56:57], s[54:55], s[56:57]             // in0 && in1
v_mul_lo_u32 v9, v9, s[sgprStrideD1J]              // coord1 element offset =  coord1 * StrideD
_v_add_lshl_u32 v9, v9, v10, 0x0                   // scale to BPE
v_cndmask_b32 v9, -1, v9, s[56:57]                 // clip if OOB. offset
buffer_store_byte v26, v9, s[sgprSrdD:sgprSrdD+3], 0, offen, offset:0 // store D
_v_add_u32 v11, v5, 4                              // coord1 += nColPerLoad
_v_add_u32 v10, v4, 9                              // coord0 += element index of load vector
_v_add_u32 v9, v6, 4                               // offset coord1 += nColPerLoad
v_cmp_lt_u32 s[54:55], v10, s[sgprSizeI]           // coord0 < size0
v_cmp_lt_u32 s[56:57], v11, s[sgprSizeJ]           // coord1 < size1
s_and_b64 s[56:57], s[54:55], s[56:57]             // in0 && in1
v_mul_lo_u32 v9, v9, s[sgprStrideD1J]              // coord1 element offset =  coord1 * StrideD
_v_add_lshl_u32 v9, v9, v10, 0x0                   // scale to BPE
v_cndmask_b32 v9, -1, v9, s[56:57]                 // clip if OOB. offset
v_lshrrev_b32 v17, 8, v26                          // vGWTmp = src >> 8
buffer_store_byte v17, v9, s[sgprSrdD:sgprSrdD+3], 0, offen, offset:0 // store D
_v_add_u32 v11, v5, 4                              // coord1 += nColPerLoad
_v_add_u32 v10, v4, 10                             // coord0 += element index of load vector
_v_add_u32 v9, v6, 4                               // offset coord1 += nColPerLoad
v_cmp_lt_u32 s[54:55], v10, s[sgprSizeI]           // coord0 < size0
v_cmp_lt_u32 s[56:57], v11, s[sgprSizeJ]           // coord1 < size1
s_and_b64 s[56:57], s[54:55], s[56:57]             // in0 && in1
v_mul_lo_u32 v9, v9, s[sgprStrideD1J]              // coord1 element offset =  coord1 * StrideD
_v_add_lshl_u32 v9, v9, v10, 0x0                   // scale to BPE
v_cndmask_b32 v9, -1, v9, s[56:57]                 // clip if OOB. offset
buffer_store_byte_d16_hi v26, v9, s[sgprSrdD:sgprSrdD+3], 0, offen, offset:0 // store D
_v_add_u32 v11, v5, 4                              // coord1 += nColPerLoad
_v_add_u32 v10, v4, 11                             // coord0 += element index of load vector
_v_add_u32 v9, v6, 4                               // offset coord1 += nColPerLoad
v_cmp_lt_u32 s[54:55], v10, s[sgprSizeI]           // coord0 < size0
v_cmp_lt_u32 s[56:57], v11, s[sgprSizeJ]           // coord1 < size1
s_and_b64 s[56:57], s[54:55], s[56:57]             // in0 && in1
v_mul_lo_u32 v9, v9, s[sgprStrideD1J]              // coord1 element offset =  coord1 * StrideD
_v_add_lshl_u32 v9, v9, v10, 0x0                   // scale to BPE
v_cndmask_b32 v9, -1, v9, s[56:57]                 // clip if OOB. offset
v_lshrrev_b32 v17, 8, v26                          // vGWTmp = src >> 8
buffer_store_byte_d16_hi v17, v9, s[sgprSrdD:sgprSrdD+3], 0, offen, offset:0 // store D
_v_add_u32 v11, v5, 4                              // coord1 += nColPerLoad
_v_add_u32 v10, v4, 12                             // coord0 += element index of load vector
_v_add_u32 v9, v6, 4                               // offset coord1 += nColPerLoad
v_cmp_lt_u32 s[54:55], v10, s[sgprSizeI]           // coord0 < size0
v_cmp_lt_u32 s[56:57], v11, s[sgprSizeJ]           // coord1 < size1
s_and_b64 s[56:57], s[54:55], s[56:57]             // in0 && in1
v_mul_lo_u32 v9, v9, s[sgprStrideD1J]              // coord1 element offset =  coord1 * StrideD
_v_add_lshl_u32 v9, v9, v10, 0x0                   // scale to BPE
v_cndmask_b32 v9, -1, v9, s[56:57]                 // clip if OOB. offset
buffer_store_byte v27, v9, s[sgprSrdD:sgprSrdD+3], 0, offen, offset:0 // store D
_v_add_u32 v11, v5, 4                              // coord1 += nColPerLoad
_v_add_u32 v10, v4, 13                             // coord0 += element index of load vector
_v_add_u32 v9, v6, 4                               // offset coord1 += nColPerLoad
v_cmp_lt_u32 s[54:55], v10, s[sgprSizeI]           // coord0 < size0
v_cmp_lt_u32 s[56:57], v11, s[sgprSizeJ]           // coord1 < size1
s_and_b64 s[56:57], s[54:55], s[56:57]             // in0 && in1
v_mul_lo_u32 v9, v9, s[sgprStrideD1J]              // coord1 element offset =  coord1 * StrideD
_v_add_lshl_u32 v9, v9, v10, 0x0                   // scale to BPE
v_cndmask_b32 v9, -1, v9, s[56:57]                 // clip if OOB. offset
v_lshrrev_b32 v17, 8, v27                          // vGWTmp = src >> 8
buffer_store_byte v17, v9, s[sgprSrdD:sgprSrdD+3], 0, offen, offset:0 // store D
_v_add_u32 v11, v5, 4                              // coord1 += nColPerLoad
_v_add_u32 v10, v4, 14                             // coord0 += element index of load vector
_v_add_u32 v9, v6, 4                               // offset coord1 += nColPerLoad
v_cmp_lt_u32 s[54:55], v10, s[sgprSizeI]           // coord0 < size0
v_cmp_lt_u32 s[56:57], v11, s[sgprSizeJ]           // coord1 < size1
s_and_b64 s[56:57], s[54:55], s[56:57]             // in0 && in1
v_mul_lo_u32 v9, v9, s[sgprStrideD1J]              // coord1 element offset =  coord1 * StrideD
_v_add_lshl_u32 v9, v9, v10, 0x0                   // scale to BPE
v_cndmask_b32 v9, -1, v9, s[56:57]                 // clip if OOB. offset
buffer_store_byte_d16_hi v27, v9, s[sgprSrdD:sgprSrdD+3], 0, offen, offset:0 // store D
_v_add_u32 v11, v5, 4                              // coord1 += nColPerLoad
_v_add_u32 v10, v4, 15                             // coord0 += element index of load vector
_v_add_u32 v9, v6, 4                               // offset coord1 += nColPerLoad
v_cmp_lt_u32 s[54:55], v10, s[sgprSizeI]           // coord0 < size0
v_cmp_lt_u32 s[56:57], v11, s[sgprSizeJ]           // coord1 < size1
s_and_b64 s[56:57], s[54:55], s[56:57]             // in0 && in1
v_mul_lo_u32 v9, v9, s[sgprStrideD1J]              // coord1 element offset =  coord1 * StrideD
_v_add_lshl_u32 v9, v9, v10, 0x0                   // scale to BPE
v_cndmask_b32 v9, -1, v9, s[56:57]                 // clip if OOB. offset
v_lshrrev_b32 v17, 8, v27                          // vGWTmp = src >> 8
buffer_store_byte_d16_hi v17, v9, s[sgprSrdD:sgprSrdD+3], 0, offen, offset:0 // store D

s_barrier //wait all lds read finished
s_nop 0                                            // 1 wait state required when next inst writes vgprs held by previous dwordx4 store inst
/* optSingleColVgpr=0 optSharedColVgpr=0 optSGPRUsage=BufferLoad_Edge_Mask optSrdIncForRow=1 */

/******************************************/
/* Global Write Alpha Beta Edge Batch #4 (d1,d0,vc1,vc0) = */
/*    (1,0,0,0:vw1); (1,0,0,1:vw1); (1,0,0,2:vw1); (1,0,0,3:vw1); (1,1,0,0:vw1); (1,1,0,1:vw1); (1,1,0,2:vw1); (1,1,0,3:vw1) */
/******************************************/

/* calc coords, apply mask, and issue loads (if necessary) */
/* (d1,vc1,d0,vc0)=(1,0,0,0) */
_v_add_co_u32 v1, vcc, v1, 32                      // coord1.1: coord1Vgpr += d1*sg1*VW + vc1
v_cmp_lt_u32 s[54:55], v0, s[sgprSizeI]            // coord0 < size0
v_cmp_lt_u32 s[58:59], v1, s[sgprSizeJ]            // coord1 < size1
s_and_b64 s[58:59], s[54:55], s[58:59]             // in0 && in1
_v_add_lshl_u32 v9, v2, v0, 0x0                    // scaleToBpe: accumulate d0 lower and *= bpe into Cin addr
v_cndmask_b32 v9, -1, v9, s[58:59]                 // LDC clip if OOB. offset
s_mul_i32 s54, s[sgprStrideC1J], 32                // scale StrideC *= numRows(32) * bpe
s_add_u32  s[sgprSrdC+0], s[sgprSrdC+0], s54       // incToNextRow: gra SRD += inc(lower)
s_addc_u32  s[sgprSrdC+1], s[sgprSrdC+1], 0        // incToNextRow: gra SRD += inc(upper)
buffer_load_ubyte v17, v9, s[sgprSrdC:sgprSrdC+3], 0, offen offset:0 // load C for beta calc
_v_add_lshl_u32 v9, v3, v0, 0x0                    // scaleToBpe: accumulate d0 lower and *= bpe into Cin addr
v_cndmask_b32 v9, -1, v9, s[58:59]                 // LDD clip if OOB. offset
/* (d1,vc1,d0,vc0)=(1,0,0,1) */
_v_add_co_u32 v10, vcc, v0, 1                      // coord0.1: coord0 += d0*sg0*VW + vc0
v_cmp_lt_u32 s[54:55], v10, s[sgprSizeI]           // coord0 < size0
v_cmp_lt_u32 s[58:59], v1, s[sgprSizeJ]            // coord1 < size1
s_and_b64 s[58:59], s[54:55], s[58:59]             // in0 && in1
_v_add_lshl_u32 v19, v2, v10, 0x0                  // scaleToBpe: accumulate d0 lower and *= bpe into Cin addr
v_cndmask_b32 v19, -1, v19, s[58:59]               // LDC clip if OOB. offset
buffer_load_ubyte v20, v19, s[sgprSrdC:sgprSrdC+3], 0, offen offset:0 // load C for beta calc
_v_add_lshl_u32 v19, v3, v10, 0x0                  // scaleToBpe: accumulate d0 lower and *= bpe into Cin addr
v_cndmask_b32 v19, -1, v19, s[58:59]               // LDD clip if OOB. offset
/* (d1,vc1,d0,vc0)=(1,0,0,2) */
_v_add_co_u32 v10, vcc, v0, 2                      // coord0.1: coord0 += d0*sg0*VW + vc0
v_cmp_lt_u32 s[54:55], v10, s[sgprSizeI]           // coord0 < size0
v_cmp_lt_u32 s[58:59], v1, s[sgprSizeJ]            // coord1 < size1
s_and_b64 s[58:59], s[54:55], s[58:59]             // in0 && in1
_v_add_lshl_u32 v22, v2, v10, 0x0                  // scaleToBpe: accumulate d0 lower and *= bpe into Cin addr
v_cndmask_b32 v22, -1, v22, s[58:59]               // LDC clip if OOB. offset
buffer_load_ubyte v23, v22, s[sgprSrdC:sgprSrdC+3], 0, offen offset:0 // load C for beta calc
_v_add_lshl_u32 v22, v3, v10, 0x0                  // scaleToBpe: accumulate d0 lower and *= bpe into Cin addr
v_cndmask_b32 v22, -1, v22, s[58:59]               // LDD clip if OOB. offset
	;; [unrolled: 10-line block ×5, first 2 shown]
/* (d1,vc1,d0,vc0)=(1,0,1,2) */
_v_add_co_u32 v10, vcc, v0, 10                     // coord0.1: coord0 += d0*sg0*VW + vc0
v_cmp_lt_u32 s[54:55], v10, s[sgprSizeI]           // coord0 < size0
v_cmp_lt_u32 s[58:59], v1, s[sgprSizeJ]            // coord1 < size1
s_and_b64 s[58:59], s[54:55], s[58:59]             // in0 && in1
_v_add_lshl_u32 v34, v2, v10, 0x0                  // scaleToBpe: accumulate d0 lower and *= bpe into Cin addr
v_cndmask_b32 v34, -1, v34, s[58:59]               // LDC clip if OOB. offset
buffer_load_ubyte v35, v34, s[sgprSrdC:sgprSrdC+3], 0, offen offset:0 // load C for beta calc
_v_add_lshl_u32 v34, v3, v10, 0x0                  // scaleToBpe: accumulate d0 lower and *= bpe into Cin addr
v_cndmask_b32 v34, -1, v34, s[58:59]               // LDD clip if OOB. offset
/* (d1,vc1,d0,vc0)=(1,0,1,3) */
_v_add_co_u32 v10, vcc, v0, 11                     // coord0.1: coord0 += d0*sg0*VW + vc0
v_cmp_lt_u32 s[54:55], v10, s[sgprSizeI]           // coord0 < size0
v_cmp_lt_u32 s[58:59], v1, s[sgprSizeJ]            // coord1 < size1
s_and_b64 s[58:59], s[54:55], s[58:59]             // in0 && in1
_v_add_lshl_u32 v37, v2, v10, 0x0                  // scaleToBpe: accumulate d0 lower and *= bpe into Cin addr
v_cndmask_b32 v37, -1, v37, s[58:59]               // LDC clip if OOB. offset
buffer_load_ubyte v38, v37, s[sgprSrdC:sgprSrdC+3], 0, offen offset:0 // load C for beta calc
_v_add_lshl_u32 v37, v3, v10, 0x0                  // scaleToBpe: accumulate d0 lower and *= bpe into Cin addr
v_cndmask_b32 v37, -1, v37, s[58:59]               // LDD clip if OOB. offset
v_accvgpr_read_b32 v[vgprValuC+18], acc32 // copy acc to vreg[32]
v_accvgpr_read_b32 v[vgprValuC+21], acc33 // copy acc to vreg[33]
v_accvgpr_read_b32 v[vgprValuC+24], acc34 // copy acc to vreg[34]
v_accvgpr_read_b32 v[vgprValuC+27], acc35 // copy acc to vreg[35]
v_accvgpr_read_b32 v[vgprValuC+30], acc36 // copy acc to vreg[36]
v_accvgpr_read_b32 v[vgprValuC+33], acc37 // copy acc to vreg[37]
v_accvgpr_read_b32 v[vgprValuC+36], acc38 // copy acc to vreg[38]
v_accvgpr_read_b32 v[vgprValuC+39], acc39 // copy acc to vreg[39]
s_nop 1                                            // 2 wait states required before reading vgpr

/* rC *= alpha batchElements=[(1, 0, 0, 0), (1, 0, 0, 1), (1, 0, 0, 2), (1, 0, 0, 3), (1, 1, 0, 0), (1, 1, 0, 1), (1, 1, 0, 2), (1, 1, 0, 3)] */
v_mul_f32 v[vgprValuC+18], s[sgprAlpha], v[vgprValuC+18] // *= alpha
v_mul_f32 v[vgprValuC+21], s[sgprAlpha], v[vgprValuC+21] // *= alpha
	;; [unrolled: 1-line block ×8, first 2 shown]
s_waitcnt vmcnt(0)                                 // wait C

/* apply mask, calc new C and issue writes */
v_mov_b32 v16, 0x207                               // flag for Nan and +/- inf
v_mov_b32 v14, 0x43700000                          // save 240.0f as max for clipping
v_mov_b32 v15, 0xC3700000                          // save -240.0f as min for clipping

/* StoreRemap: shift coord1 address */
s_mul_i32 s54, s[sgprStrideD1J], 32                // scale StrideD *= numRows(32) * bpe
s_add_u32  s[sgprSrdD+0], s[sgprSrdD+0], s54       // incToNextRow: gra SRD += inc(lower)
s_addc_u32  s[sgprSrdD+1], s[sgprSrdD+1], 0        // incToNextRow: gra SRD += inc(upper)
v_mov_b32 v10, 32                                  // set shift rows
_v_add_u32 v5, v5, v10                             // shift storeRemap coord1
v_cvt_f32_fp8 v12, v17 src0_sel:BYTE_0   // convert fp8 in lo_byte[0] to f32
_v_mac_f32 v[vgprValuC+18], v12, s[sgprBeta]       // finalSum = sum*alpha + C*beta
v_cmp_class_f32 s[54:55], v[vgprValuC+18], v16     // check NaN and +/-INF
v_med3_f32 v12, v[vgprValuC+18], v14, v15          // Clipping f32 value if exceeds the limit
v_cndmask_b32 v12, v12, v[vgprValuC+18], s[54:55]  // 
v_cvt_pk_fp8_f32  v18, v12, v12                    // convert f32 accumulated values to fp8
ds_write_b8 v7, v18, offset:0                      // storeRemap lw
v_cvt_f32_fp8 v12, v20 src0_sel:BYTE_0   // convert fp8 in lo_byte[0] to f32
_v_mac_f32 v[vgprValuC+21], v12, s[sgprBeta]       // finalSum = sum*alpha + C*beta
v_cmp_class_f32 s[54:55], v[vgprValuC+21], v16     // check NaN and +/-INF
v_med3_f32 v12, v[vgprValuC+21], v14, v15          // Clipping f32 value if exceeds the limit
v_cndmask_b32 v12, v12, v[vgprValuC+21], s[54:55]  // 
v_cvt_pk_fp8_f32  v21, v12, v12                    // convert f32 accumulated values to fp8
ds_write_b8 v7, v21, offset:1                      // storeRemap lw
	;; [unrolled: 7-line block ×6, first 2 shown]
v_cvt_f32_fp8 v12, v35 src0_sel:BYTE_0   // convert fp8 in lo_byte[0] to f32
_v_mac_f32 v[vgprValuC+36], v12, s[sgprBeta]       // finalSum = sum*alpha + C*beta
v_cmp_class_f32 s[54:55], v[vgprValuC+36], v16     // check NaN and +/-INF
v_med3_f32 v12, v[vgprValuC+36], v14, v15          // Clipping f32 value if exceeds the limit
v_cndmask_b32 v12, v12, v[vgprValuC+36], s[54:55]  // 
v_cvt_pk_fp8_f32  v36, v12, v12                    // convert f32 accumulated values to fp8
ds_write_b8 v7, v36, offset:10                     // storeRemap lw
v_cvt_f32_fp8 v12, v38 src0_sel:BYTE_0   // convert fp8 in lo_byte[0] to f32
_v_mac_f32 v[vgprValuC+39], v12, s[sgprBeta]       // finalSum = sum*alpha + C*beta
v_cmp_class_f32 s[54:55], v[vgprValuC+39], v16     // check NaN and +/-INF
v_med3_f32 v12, v[vgprValuC+39], v14, v15          // Clipping f32 value if exceeds the limit
v_cndmask_b32 v12, v12, v[vgprValuC+39], s[54:55]  // 
v_cvt_pk_fp8_f32  v39, v12, v12                    // convert f32 accumulated values to fp8
ds_write_b8 v7, v39, offset:11                     // storeRemap lw
s_nop 0                                            // 1 wait state required when next inst writes vgprs held by previous dwordx4 store inst
/* optSingleColVgpr=0 optSharedColVgpr=0 optSGPRUsage=BufferLoad_Edge_Mask optSrdIncForRow=1 */

/******************************************/
/* Global Write Alpha Beta Edge Batch #5 (d1,d0,vc1,vc0) = */
/*    (1,2,0,0:vw1); (1,2,0,1:vw1); (1,2,0,2:vw1); (1,2,0,3:vw1); (1,3,0,0:vw1); (1,3,0,1:vw1); (1,3,0,2:vw1); (1,3,0,3:vw1) */
/******************************************/

/* calc coords, apply mask, and issue loads (if necessary) */
/* (d1,vc1,d0,vc0)=(1,0,2,0) */
_v_add_co_u32 v10, vcc, v0, 16                     // coord0.1: coord0 += d0*sg0*VW + vc0
v_cmp_lt_u32 s[54:55], v10, s[sgprSizeI]           // coord0 < size0
v_cmp_lt_u32 s[58:59], v1, s[sgprSizeJ]            // coord1 < size1
s_and_b64 s[58:59], s[54:55], s[58:59]             // in0 && in1
_v_add_lshl_u32 v9, v2, v10, 0x0                   // scaleToBpe: accumulate d0 lower and *= bpe into Cin addr
v_cndmask_b32 v9, -1, v9, s[58:59]                 // LDC clip if OOB. offset
buffer_load_ubyte v17, v9, s[sgprSrdC:sgprSrdC+3], 0, offen offset:0 // load C for beta calc
_v_add_lshl_u32 v9, v3, v10, 0x0                   // scaleToBpe: accumulate d0 lower and *= bpe into Cin addr
v_cndmask_b32 v9, -1, v9, s[58:59]                 // LDD clip if OOB. offset
/* (d1,vc1,d0,vc0)=(1,0,2,1) */
_v_add_co_u32 v10, vcc, v0, 17                     // coord0.1: coord0 += d0*sg0*VW + vc0
v_cmp_lt_u32 s[54:55], v10, s[sgprSizeI]           // coord0 < size0
v_cmp_lt_u32 s[58:59], v1, s[sgprSizeJ]            // coord1 < size1
s_and_b64 s[58:59], s[54:55], s[58:59]             // in0 && in1
_v_add_lshl_u32 v19, v2, v10, 0x0                  // scaleToBpe: accumulate d0 lower and *= bpe into Cin addr
v_cndmask_b32 v19, -1, v19, s[58:59]               // LDC clip if OOB. offset
buffer_load_ubyte v20, v19, s[sgprSrdC:sgprSrdC+3], 0, offen offset:0 // load C for beta calc
_v_add_lshl_u32 v19, v3, v10, 0x0                  // scaleToBpe: accumulate d0 lower and *= bpe into Cin addr
v_cndmask_b32 v19, -1, v19, s[58:59]               // LDD clip if OOB. offset
/* (d1,vc1,d0,vc0)=(1,0,2,2) */
_v_add_co_u32 v10, vcc, v0, 18                     // coord0.1: coord0 += d0*sg0*VW + vc0
v_cmp_lt_u32 s[54:55], v10, s[sgprSizeI]           // coord0 < size0
v_cmp_lt_u32 s[58:59], v1, s[sgprSizeJ]            // coord1 < size1
s_and_b64 s[58:59], s[54:55], s[58:59]             // in0 && in1
_v_add_lshl_u32 v22, v2, v10, 0x0                  // scaleToBpe: accumulate d0 lower and *= bpe into Cin addr
v_cndmask_b32 v22, -1, v22, s[58:59]               // LDC clip if OOB. offset
buffer_load_ubyte v23, v22, s[sgprSrdC:sgprSrdC+3], 0, offen offset:0 // load C for beta calc
_v_add_lshl_u32 v22, v3, v10, 0x0                  // scaleToBpe: accumulate d0 lower and *= bpe into Cin addr
v_cndmask_b32 v22, -1, v22, s[58:59]               // LDD clip if OOB. offset
	;; [unrolled: 10-line block ×7, first 2 shown]
v_accvgpr_read_b32 v[vgprValuC+18], acc40 // copy acc to vreg[40]
v_accvgpr_read_b32 v[vgprValuC+21], acc41 // copy acc to vreg[41]
v_accvgpr_read_b32 v[vgprValuC+24], acc42 // copy acc to vreg[42]
v_accvgpr_read_b32 v[vgprValuC+27], acc43 // copy acc to vreg[43]
v_accvgpr_read_b32 v[vgprValuC+30], acc44 // copy acc to vreg[44]
v_accvgpr_read_b32 v[vgprValuC+33], acc45 // copy acc to vreg[45]
v_accvgpr_read_b32 v[vgprValuC+36], acc46 // copy acc to vreg[46]
v_accvgpr_read_b32 v[vgprValuC+39], acc47 // copy acc to vreg[47]
s_nop 1                                            // 2 wait states required before reading vgpr

/* rC *= alpha batchElements=[(1, 2, 0, 0), (1, 2, 0, 1), (1, 2, 0, 2), (1, 2, 0, 3), (1, 3, 0, 0), (1, 3, 0, 1), (1, 3, 0, 2), (1, 3, 0, 3)] */
v_mul_f32 v[vgprValuC+18], s[sgprAlpha], v[vgprValuC+18] // *= alpha
v_mul_f32 v[vgprValuC+21], s[sgprAlpha], v[vgprValuC+21] // *= alpha
	;; [unrolled: 1-line block ×8, first 2 shown]
s_waitcnt vmcnt(0)                                 // wait C

/* apply mask, calc new C and issue writes */
v_mov_b32 v16, 0x207                               // flag for Nan and +/- inf
v_mov_b32 v14, 0x43700000                          // save 240.0f as max for clipping
v_mov_b32 v15, 0xC3700000                          // save -240.0f as min for clipping
v_cvt_f32_fp8 v12, v17 src0_sel:BYTE_0   // convert fp8 in lo_byte[0] to f32
_v_mac_f32 v[vgprValuC+18], v12, s[sgprBeta]       // finalSum = sum*alpha + C*beta
v_cmp_class_f32 s[54:55], v[vgprValuC+18], v16     // check NaN and +/-INF
v_med3_f32 v12, v[vgprValuC+18], v14, v15          // Clipping f32 value if exceeds the limit
v_cndmask_b32 v12, v12, v[vgprValuC+18], s[54:55]  // 
v_cvt_pk_fp8_f32  v18, v12, v12                    // convert f32 accumulated values to fp8
ds_write_b8 v7, v18, offset:16                     // storeRemap lw
v_cvt_f32_fp8 v12, v20 src0_sel:BYTE_0   // convert fp8 in lo_byte[0] to f32
_v_mac_f32 v[vgprValuC+21], v12, s[sgprBeta]       // finalSum = sum*alpha + C*beta
v_cmp_class_f32 s[54:55], v[vgprValuC+21], v16     // check NaN and +/-INF
v_med3_f32 v12, v[vgprValuC+21], v14, v15          // Clipping f32 value if exceeds the limit
v_cndmask_b32 v12, v12, v[vgprValuC+21], s[54:55]  // 
v_cvt_pk_fp8_f32  v21, v12, v12                    // convert f32 accumulated values to fp8
ds_write_b8 v7, v21, offset:17                     // storeRemap lw
	;; [unrolled: 7-line block ×8, first 2 shown]
s_nop 0                                            // 1 wait state required when next inst writes vgprs held by previous dwordx4 store inst
/* optSingleColVgpr=0 optSharedColVgpr=0 optSGPRUsage=BufferLoad_Edge_Mask optSrdIncForRow=1 */

/******************************************/
/* Global Write Alpha Beta Edge Batch #6 (d1,d0,vc1,vc0) = */
/*    (1,4,0,0:vw1); (1,4,0,1:vw1); (1,4,0,2:vw1); (1,4,0,3:vw1); (1,5,0,0:vw1); (1,5,0,1:vw1); (1,5,0,2:vw1); (1,5,0,3:vw1) */
/******************************************/

/* calc coords, apply mask, and issue loads (if necessary) */
/* (d1,vc1,d0,vc0)=(1,0,4,0) */
s_mov_b32 s54, 128                                 // coordOffset0 d0=4 vc0=0
_v_add_co_u32 v10, vcc, v0, s54                    // coord0.2: coord0 += d0*sg0*VW + vc0
v_cmp_lt_u32 s[54:55], v10, s[sgprSizeI]           // coord0 < size0
v_cmp_lt_u32 s[58:59], v1, s[sgprSizeJ]            // coord1 < size1
s_and_b64 s[58:59], s[54:55], s[58:59]             // in0 && in1
_v_add_lshl_u32 v9, v2, v10, 0x0                   // scaleToBpe: accumulate d0 lower and *= bpe into Cin addr
v_cndmask_b32 v9, -1, v9, s[58:59]                 // LDC clip if OOB. offset
buffer_load_ubyte v17, v9, s[sgprSrdC:sgprSrdC+3], 0, offen offset:0 // load C for beta calc
_v_add_lshl_u32 v9, v3, v10, 0x0                   // scaleToBpe: accumulate d0 lower and *= bpe into Cin addr
v_cndmask_b32 v9, -1, v9, s[58:59]                 // LDD clip if OOB. offset
/* (d1,vc1,d0,vc0)=(1,0,4,1) */
s_mov_b32 s54, 129                                 // coordOffset0 d0=4 vc0=1
_v_add_co_u32 v10, vcc, v0, s54                    // coord0.2: coord0 += d0*sg0*VW + vc0
v_cmp_lt_u32 s[54:55], v10, s[sgprSizeI]           // coord0 < size0
v_cmp_lt_u32 s[58:59], v1, s[sgprSizeJ]            // coord1 < size1
s_and_b64 s[58:59], s[54:55], s[58:59]             // in0 && in1
_v_add_lshl_u32 v19, v2, v10, 0x0                  // scaleToBpe: accumulate d0 lower and *= bpe into Cin addr
v_cndmask_b32 v19, -1, v19, s[58:59]               // LDC clip if OOB. offset
buffer_load_ubyte v20, v19, s[sgprSrdC:sgprSrdC+3], 0, offen offset:0 // load C for beta calc
_v_add_lshl_u32 v19, v3, v10, 0x0                  // scaleToBpe: accumulate d0 lower and *= bpe into Cin addr
v_cndmask_b32 v19, -1, v19, s[58:59]               // LDD clip if OOB. offset
/* (d1,vc1,d0,vc0)=(1,0,4,2) */
s_mov_b32 s54, 130                                 // coordOffset0 d0=4 vc0=2
_v_add_co_u32 v10, vcc, v0, s54                    // coord0.2: coord0 += d0*sg0*VW + vc0
v_cmp_lt_u32 s[54:55], v10, s[sgprSizeI]           // coord0 < size0
v_cmp_lt_u32 s[58:59], v1, s[sgprSizeJ]            // coord1 < size1
s_and_b64 s[58:59], s[54:55], s[58:59]             // in0 && in1
_v_add_lshl_u32 v22, v2, v10, 0x0                  // scaleToBpe: accumulate d0 lower and *= bpe into Cin addr
v_cndmask_b32 v22, -1, v22, s[58:59]               // LDC clip if OOB. offset
buffer_load_ubyte v23, v22, s[sgprSrdC:sgprSrdC+3], 0, offen offset:0 // load C for beta calc
_v_add_lshl_u32 v22, v3, v10, 0x0                  // scaleToBpe: accumulate d0 lower and *= bpe into Cin addr
v_cndmask_b32 v22, -1, v22, s[58:59]               // LDD clip if OOB. offset
	;; [unrolled: 11-line block ×7, first 2 shown]
v_accvgpr_read_b32 v[vgprValuC+18], acc48 // copy acc to vreg[48]
v_accvgpr_read_b32 v[vgprValuC+21], acc49 // copy acc to vreg[49]
v_accvgpr_read_b32 v[vgprValuC+24], acc50 // copy acc to vreg[50]
v_accvgpr_read_b32 v[vgprValuC+27], acc51 // copy acc to vreg[51]
v_accvgpr_read_b32 v[vgprValuC+30], acc52 // copy acc to vreg[52]
v_accvgpr_read_b32 v[vgprValuC+33], acc53 // copy acc to vreg[53]
v_accvgpr_read_b32 v[vgprValuC+36], acc54 // copy acc to vreg[54]
v_accvgpr_read_b32 v[vgprValuC+39], acc55 // copy acc to vreg[55]
s_nop 1                                            // 2 wait states required before reading vgpr

/* rC *= alpha batchElements=[(1, 4, 0, 0), (1, 4, 0, 1), (1, 4, 0, 2), (1, 4, 0, 3), (1, 5, 0, 0), (1, 5, 0, 1), (1, 5, 0, 2), (1, 5, 0, 3)] */
v_mul_f32 v[vgprValuC+18], s[sgprAlpha], v[vgprValuC+18] // *= alpha
v_mul_f32 v[vgprValuC+21], s[sgprAlpha], v[vgprValuC+21] // *= alpha
	;; [unrolled: 1-line block ×8, first 2 shown]
s_waitcnt vmcnt(0)                                 // wait C

/* apply mask, calc new C and issue writes */
v_mov_b32 v16, 0x207                               // flag for Nan and +/- inf
v_mov_b32 v14, 0x43700000                          // save 240.0f as max for clipping
v_mov_b32 v15, 0xC3700000                          // save -240.0f as min for clipping
v_cvt_f32_fp8 v12, v17 src0_sel:BYTE_0   // convert fp8 in lo_byte[0] to f32
_v_mac_f32 v[vgprValuC+18], v12, s[sgprBeta]       // finalSum = sum*alpha + C*beta
v_cmp_class_f32 s[54:55], v[vgprValuC+18], v16     // check NaN and +/-INF
v_med3_f32 v12, v[vgprValuC+18], v14, v15          // Clipping f32 value if exceeds the limit
v_cndmask_b32 v12, v12, v[vgprValuC+18], s[54:55]  // 
v_cvt_pk_fp8_f32  v18, v12, v12                    // convert f32 accumulated values to fp8
ds_write_b8 v7, v18, offset:128                    // storeRemap lw
v_cvt_f32_fp8 v12, v20 src0_sel:BYTE_0   // convert fp8 in lo_byte[0] to f32
_v_mac_f32 v[vgprValuC+21], v12, s[sgprBeta]       // finalSum = sum*alpha + C*beta
v_cmp_class_f32 s[54:55], v[vgprValuC+21], v16     // check NaN and +/-INF
v_med3_f32 v12, v[vgprValuC+21], v14, v15          // Clipping f32 value if exceeds the limit
v_cndmask_b32 v12, v12, v[vgprValuC+21], s[54:55]  // 
v_cvt_pk_fp8_f32  v21, v12, v12                    // convert f32 accumulated values to fp8
ds_write_b8 v7, v21, offset:129                    // storeRemap lw
	;; [unrolled: 7-line block ×8, first 2 shown]
s_nop 0                                            // 1 wait state required when next inst writes vgprs held by previous dwordx4 store inst
/* optSingleColVgpr=0 optSharedColVgpr=0 optSGPRUsage=BufferLoad_Edge_Mask optSrdIncForRow=1 */

/******************************************/
/* Global Write Alpha Beta Edge Batch #7 (d1,d0,vc1,vc0) = */
/*    (1,6,0,0:vw1); (1,6,0,1:vw1); (1,6,0,2:vw1); (1,6,0,3:vw1); (1,7,0,0:vw1); (1,7,0,1:vw1); (1,7,0,2:vw1); (1,7,0,3:vw1) */
/******************************************/

/* calc coords, apply mask, and issue loads (if necessary) */
/* (d1,vc1,d0,vc0)=(1,0,6,0) */
s_mov_b32 s54, 144                                 // coordOffset0 d0=6 vc0=0
_v_add_co_u32 v10, vcc, v0, s54                    // coord0.2: coord0 += d0*sg0*VW + vc0
v_cmp_lt_u32 s[54:55], v10, s[sgprSizeI]           // coord0 < size0
v_cmp_lt_u32 s[58:59], v1, s[sgprSizeJ]            // coord1 < size1
s_and_b64 s[58:59], s[54:55], s[58:59]             // in0 && in1
_v_add_lshl_u32 v9, v2, v10, 0x0                   // scaleToBpe: accumulate d0 lower and *= bpe into Cin addr
v_cndmask_b32 v9, -1, v9, s[58:59]                 // LDC clip if OOB. offset
buffer_load_ubyte v17, v9, s[sgprSrdC:sgprSrdC+3], 0, offen offset:0 // load C for beta calc
_v_add_lshl_u32 v9, v3, v10, 0x0                   // scaleToBpe: accumulate d0 lower and *= bpe into Cin addr
v_cndmask_b32 v9, -1, v9, s[58:59]                 // LDD clip if OOB. offset
/* (d1,vc1,d0,vc0)=(1,0,6,1) */
s_mov_b32 s54, 145                                 // coordOffset0 d0=6 vc0=1
_v_add_co_u32 v10, vcc, v0, s54                    // coord0.2: coord0 += d0*sg0*VW + vc0
v_cmp_lt_u32 s[54:55], v10, s[sgprSizeI]           // coord0 < size0
v_cmp_lt_u32 s[58:59], v1, s[sgprSizeJ]            // coord1 < size1
s_and_b64 s[58:59], s[54:55], s[58:59]             // in0 && in1
_v_add_lshl_u32 v19, v2, v10, 0x0                  // scaleToBpe: accumulate d0 lower and *= bpe into Cin addr
v_cndmask_b32 v19, -1, v19, s[58:59]               // LDC clip if OOB. offset
buffer_load_ubyte v20, v19, s[sgprSrdC:sgprSrdC+3], 0, offen offset:0 // load C for beta calc
_v_add_lshl_u32 v19, v3, v10, 0x0                  // scaleToBpe: accumulate d0 lower and *= bpe into Cin addr
v_cndmask_b32 v19, -1, v19, s[58:59]               // LDD clip if OOB. offset
/* (d1,vc1,d0,vc0)=(1,0,6,2) */
s_mov_b32 s54, 146                                 // coordOffset0 d0=6 vc0=2
_v_add_co_u32 v10, vcc, v0, s54                    // coord0.2: coord0 += d0*sg0*VW + vc0
v_cmp_lt_u32 s[54:55], v10, s[sgprSizeI]           // coord0 < size0
v_cmp_lt_u32 s[58:59], v1, s[sgprSizeJ]            // coord1 < size1
s_and_b64 s[58:59], s[54:55], s[58:59]             // in0 && in1
_v_add_lshl_u32 v22, v2, v10, 0x0                  // scaleToBpe: accumulate d0 lower and *= bpe into Cin addr
v_cndmask_b32 v22, -1, v22, s[58:59]               // LDC clip if OOB. offset
buffer_load_ubyte v23, v22, s[sgprSrdC:sgprSrdC+3], 0, offen offset:0 // load C for beta calc
_v_add_lshl_u32 v22, v3, v10, 0x0                  // scaleToBpe: accumulate d0 lower and *= bpe into Cin addr
v_cndmask_b32 v22, -1, v22, s[58:59]               // LDD clip if OOB. offset
	;; [unrolled: 11-line block ×7, first 2 shown]
v_accvgpr_read_b32 v[vgprValuC+18], acc56 // copy acc to vreg[56]
v_accvgpr_read_b32 v[vgprValuC+21], acc57 // copy acc to vreg[57]
v_accvgpr_read_b32 v[vgprValuC+24], acc58 // copy acc to vreg[58]
v_accvgpr_read_b32 v[vgprValuC+27], acc59 // copy acc to vreg[59]
v_accvgpr_read_b32 v[vgprValuC+30], acc60 // copy acc to vreg[60]
v_accvgpr_read_b32 v[vgprValuC+33], acc61 // copy acc to vreg[61]
v_accvgpr_read_b32 v[vgprValuC+36], acc62 // copy acc to vreg[62]
v_accvgpr_read_b32 v[vgprValuC+39], acc63 // copy acc to vreg[63]
s_nop 1                                            // 2 wait states required before reading vgpr

/* rC *= alpha batchElements=[(1, 6, 0, 0), (1, 6, 0, 1), (1, 6, 0, 2), (1, 6, 0, 3), (1, 7, 0, 0), (1, 7, 0, 1), (1, 7, 0, 2), (1, 7, 0, 3)] */
v_mul_f32 v[vgprValuC+18], s[sgprAlpha], v[vgprValuC+18] // *= alpha
v_mul_f32 v[vgprValuC+21], s[sgprAlpha], v[vgprValuC+21] // *= alpha
	;; [unrolled: 1-line block ×8, first 2 shown]
s_waitcnt vmcnt(0)                                 // wait C

/* apply mask, calc new C and issue writes */
v_mov_b32 v16, 0x207                               // flag for Nan and +/- inf
v_mov_b32 v14, 0x43700000                          // save 240.0f as max for clipping
v_mov_b32 v15, 0xC3700000                          // save -240.0f as min for clipping
v_cvt_f32_fp8 v12, v17 src0_sel:BYTE_0   // convert fp8 in lo_byte[0] to f32
_v_mac_f32 v[vgprValuC+18], v12, s[sgprBeta]       // finalSum = sum*alpha + C*beta
v_cmp_class_f32 s[54:55], v[vgprValuC+18], v16     // check NaN and +/-INF
v_med3_f32 v12, v[vgprValuC+18], v14, v15          // Clipping f32 value if exceeds the limit
v_cndmask_b32 v12, v12, v[vgprValuC+18], s[54:55]  // 
v_cvt_pk_fp8_f32  v18, v12, v12                    // convert f32 accumulated values to fp8
ds_write_b8 v7, v18, offset:144                    // storeRemap lw
v_cvt_f32_fp8 v12, v20 src0_sel:BYTE_0   // convert fp8 in lo_byte[0] to f32
_v_mac_f32 v[vgprValuC+21], v12, s[sgprBeta]       // finalSum = sum*alpha + C*beta
v_cmp_class_f32 s[54:55], v[vgprValuC+21], v16     // check NaN and +/-INF
v_med3_f32 v12, v[vgprValuC+21], v14, v15          // Clipping f32 value if exceeds the limit
v_cndmask_b32 v12, v12, v[vgprValuC+21], s[54:55]  // 
v_cvt_pk_fp8_f32  v21, v12, v12                    // convert f32 accumulated values to fp8
ds_write_b8 v7, v21, offset:145                    // storeRemap lw
	;; [unrolled: 7-line block ×8, first 2 shown]

/* Handle local read and global write */
s_waitcnt lgkmcnt(0)                               // wait for LDS write
s_barrier //wait all lds write finished

_ds_load_b128 v[20:23], v8, offset:0               // storeRemap lr
_ds_load_b128 v[24:27], v8, offset:1088            // storeRemap lr

s_waitcnt lgkmcnt(1)                               // wait for LDS read
_v_add_u32 v11, v5, 0                              // coord1 += nColPerLoad
_v_add_u32 v10, v4, 0                              // coord0 += element index of load vector
_v_add_u32 v9, v6, 0                               // offset coord1 += nColPerLoad
v_cmp_lt_u32 s[54:55], v10, s[sgprSizeI]           // coord0 < size0
v_cmp_lt_u32 s[56:57], v11, s[sgprSizeJ]           // coord1 < size1
s_and_b64 s[56:57], s[54:55], s[56:57]             // in0 && in1
v_mul_lo_u32 v9, v9, s[sgprStrideD1J]              // coord1 element offset =  coord1 * StrideD
_v_add_lshl_u32 v9, v9, v10, 0x0                   // scale to BPE
v_cndmask_b32 v9, -1, v9, s[56:57]                 // clip if OOB. offset
buffer_store_byte v20, v9, s[sgprSrdD:sgprSrdD+3], 0, offen, offset:0 // store D
_v_add_u32 v11, v5, 0                              // coord1 += nColPerLoad
_v_add_u32 v10, v4, 1                              // coord0 += element index of load vector
_v_add_u32 v9, v6, 0                               // offset coord1 += nColPerLoad
v_cmp_lt_u32 s[54:55], v10, s[sgprSizeI]           // coord0 < size0
v_cmp_lt_u32 s[56:57], v11, s[sgprSizeJ]           // coord1 < size1
s_and_b64 s[56:57], s[54:55], s[56:57]             // in0 && in1
v_mul_lo_u32 v9, v9, s[sgprStrideD1J]              // coord1 element offset =  coord1 * StrideD
_v_add_lshl_u32 v9, v9, v10, 0x0                   // scale to BPE
v_cndmask_b32 v9, -1, v9, s[56:57]                 // clip if OOB. offset
v_lshrrev_b32 v17, 8, v20                          // vGWTmp = src >> 8
buffer_store_byte v17, v9, s[sgprSrdD:sgprSrdD+3], 0, offen, offset:0 // store D
_v_add_u32 v11, v5, 0                              // coord1 += nColPerLoad
_v_add_u32 v10, v4, 2                              // coord0 += element index of load vector
_v_add_u32 v9, v6, 0                               // offset coord1 += nColPerLoad
v_cmp_lt_u32 s[54:55], v10, s[sgprSizeI]           // coord0 < size0
v_cmp_lt_u32 s[56:57], v11, s[sgprSizeJ]           // coord1 < size1
s_and_b64 s[56:57], s[54:55], s[56:57]             // in0 && in1
v_mul_lo_u32 v9, v9, s[sgprStrideD1J]              // coord1 element offset =  coord1 * StrideD
_v_add_lshl_u32 v9, v9, v10, 0x0                   // scale to BPE
v_cndmask_b32 v9, -1, v9, s[56:57]                 // clip if OOB. offset
buffer_store_byte_d16_hi v20, v9, s[sgprSrdD:sgprSrdD+3], 0, offen, offset:0 // store D
_v_add_u32 v11, v5, 0                              // coord1 += nColPerLoad
_v_add_u32 v10, v4, 3                              // coord0 += element index of load vector
_v_add_u32 v9, v6, 0                               // offset coord1 += nColPerLoad
v_cmp_lt_u32 s[54:55], v10, s[sgprSizeI]           // coord0 < size0
v_cmp_lt_u32 s[56:57], v11, s[sgprSizeJ]           // coord1 < size1
s_and_b64 s[56:57], s[54:55], s[56:57]             // in0 && in1
v_mul_lo_u32 v9, v9, s[sgprStrideD1J]              // coord1 element offset =  coord1 * StrideD
_v_add_lshl_u32 v9, v9, v10, 0x0                   // scale to BPE
v_cndmask_b32 v9, -1, v9, s[56:57]                 // clip if OOB. offset
v_lshrrev_b32 v17, 8, v20                          // vGWTmp = src >> 8
buffer_store_byte_d16_hi v17, v9, s[sgprSrdD:sgprSrdD+3], 0, offen, offset:0 // store D
_v_add_u32 v11, v5, 0                              // coord1 += nColPerLoad
_v_add_u32 v10, v4, 4                              // coord0 += element index of load vector
_v_add_u32 v9, v6, 0                               // offset coord1 += nColPerLoad
v_cmp_lt_u32 s[54:55], v10, s[sgprSizeI]           // coord0 < size0
v_cmp_lt_u32 s[56:57], v11, s[sgprSizeJ]           // coord1 < size1
s_and_b64 s[56:57], s[54:55], s[56:57]             // in0 && in1
v_mul_lo_u32 v9, v9, s[sgprStrideD1J]              // coord1 element offset =  coord1 * StrideD
_v_add_lshl_u32 v9, v9, v10, 0x0                   // scale to BPE
v_cndmask_b32 v9, -1, v9, s[56:57]                 // clip if OOB. offset
buffer_store_byte v21, v9, s[sgprSrdD:sgprSrdD+3], 0, offen, offset:0 // store D
_v_add_u32 v11, v5, 0                              // coord1 += nColPerLoad
_v_add_u32 v10, v4, 5                              // coord0 += element index of load vector
_v_add_u32 v9, v6, 0                               // offset coord1 += nColPerLoad
v_cmp_lt_u32 s[54:55], v10, s[sgprSizeI]           // coord0 < size0
v_cmp_lt_u32 s[56:57], v11, s[sgprSizeJ]           // coord1 < size1
s_and_b64 s[56:57], s[54:55], s[56:57]             // in0 && in1
v_mul_lo_u32 v9, v9, s[sgprStrideD1J]              // coord1 element offset =  coord1 * StrideD
_v_add_lshl_u32 v9, v9, v10, 0x0                   // scale to BPE
v_cndmask_b32 v9, -1, v9, s[56:57]                 // clip if OOB. offset
v_lshrrev_b32 v17, 8, v21                          // vGWTmp = src >> 8
buffer_store_byte v17, v9, s[sgprSrdD:sgprSrdD+3], 0, offen, offset:0 // store D
_v_add_u32 v11, v5, 0                              // coord1 += nColPerLoad
_v_add_u32 v10, v4, 6                              // coord0 += element index of load vector
_v_add_u32 v9, v6, 0                               // offset coord1 += nColPerLoad
v_cmp_lt_u32 s[54:55], v10, s[sgprSizeI]           // coord0 < size0
v_cmp_lt_u32 s[56:57], v11, s[sgprSizeJ]           // coord1 < size1
s_and_b64 s[56:57], s[54:55], s[56:57]             // in0 && in1
v_mul_lo_u32 v9, v9, s[sgprStrideD1J]              // coord1 element offset =  coord1 * StrideD
_v_add_lshl_u32 v9, v9, v10, 0x0                   // scale to BPE
v_cndmask_b32 v9, -1, v9, s[56:57]                 // clip if OOB. offset
buffer_store_byte_d16_hi v21, v9, s[sgprSrdD:sgprSrdD+3], 0, offen, offset:0 // store D
_v_add_u32 v11, v5, 0                              // coord1 += nColPerLoad
_v_add_u32 v10, v4, 7                              // coord0 += element index of load vector
_v_add_u32 v9, v6, 0                               // offset coord1 += nColPerLoad
v_cmp_lt_u32 s[54:55], v10, s[sgprSizeI]           // coord0 < size0
v_cmp_lt_u32 s[56:57], v11, s[sgprSizeJ]           // coord1 < size1
s_and_b64 s[56:57], s[54:55], s[56:57]             // in0 && in1
v_mul_lo_u32 v9, v9, s[sgprStrideD1J]              // coord1 element offset =  coord1 * StrideD
_v_add_lshl_u32 v9, v9, v10, 0x0                   // scale to BPE
v_cndmask_b32 v9, -1, v9, s[56:57]                 // clip if OOB. offset
v_lshrrev_b32 v17, 8, v21                          // vGWTmp = src >> 8
buffer_store_byte_d16_hi v17, v9, s[sgprSrdD:sgprSrdD+3], 0, offen, offset:0 // store D
_v_add_u32 v11, v5, 0                              // coord1 += nColPerLoad
_v_add_u32 v10, v4, 8                              // coord0 += element index of load vector
_v_add_u32 v9, v6, 0                               // offset coord1 += nColPerLoad
v_cmp_lt_u32 s[54:55], v10, s[sgprSizeI]           // coord0 < size0
v_cmp_lt_u32 s[56:57], v11, s[sgprSizeJ]           // coord1 < size1
s_and_b64 s[56:57], s[54:55], s[56:57]             // in0 && in1
v_mul_lo_u32 v9, v9, s[sgprStrideD1J]              // coord1 element offset =  coord1 * StrideD
_v_add_lshl_u32 v9, v9, v10, 0x0                   // scale to BPE
v_cndmask_b32 v9, -1, v9, s[56:57]                 // clip if OOB. offset
buffer_store_byte v22, v9, s[sgprSrdD:sgprSrdD+3], 0, offen, offset:0 // store D
_v_add_u32 v11, v5, 0                              // coord1 += nColPerLoad
_v_add_u32 v10, v4, 9                              // coord0 += element index of load vector
_v_add_u32 v9, v6, 0                               // offset coord1 += nColPerLoad
v_cmp_lt_u32 s[54:55], v10, s[sgprSizeI]           // coord0 < size0
v_cmp_lt_u32 s[56:57], v11, s[sgprSizeJ]           // coord1 < size1
s_and_b64 s[56:57], s[54:55], s[56:57]             // in0 && in1
v_mul_lo_u32 v9, v9, s[sgprStrideD1J]              // coord1 element offset =  coord1 * StrideD
_v_add_lshl_u32 v9, v9, v10, 0x0                   // scale to BPE
v_cndmask_b32 v9, -1, v9, s[56:57]                 // clip if OOB. offset
v_lshrrev_b32 v17, 8, v22                          // vGWTmp = src >> 8
buffer_store_byte v17, v9, s[sgprSrdD:sgprSrdD+3], 0, offen, offset:0 // store D
_v_add_u32 v11, v5, 0                              // coord1 += nColPerLoad
_v_add_u32 v10, v4, 10                             // coord0 += element index of load vector
_v_add_u32 v9, v6, 0                               // offset coord1 += nColPerLoad
v_cmp_lt_u32 s[54:55], v10, s[sgprSizeI]           // coord0 < size0
v_cmp_lt_u32 s[56:57], v11, s[sgprSizeJ]           // coord1 < size1
s_and_b64 s[56:57], s[54:55], s[56:57]             // in0 && in1
v_mul_lo_u32 v9, v9, s[sgprStrideD1J]              // coord1 element offset =  coord1 * StrideD
_v_add_lshl_u32 v9, v9, v10, 0x0                   // scale to BPE
v_cndmask_b32 v9, -1, v9, s[56:57]                 // clip if OOB. offset
buffer_store_byte_d16_hi v22, v9, s[sgprSrdD:sgprSrdD+3], 0, offen, offset:0 // store D
_v_add_u32 v11, v5, 0                              // coord1 += nColPerLoad
_v_add_u32 v10, v4, 11                             // coord0 += element index of load vector
_v_add_u32 v9, v6, 0                               // offset coord1 += nColPerLoad
v_cmp_lt_u32 s[54:55], v10, s[sgprSizeI]           // coord0 < size0
v_cmp_lt_u32 s[56:57], v11, s[sgprSizeJ]           // coord1 < size1
s_and_b64 s[56:57], s[54:55], s[56:57]             // in0 && in1
v_mul_lo_u32 v9, v9, s[sgprStrideD1J]              // coord1 element offset =  coord1 * StrideD
_v_add_lshl_u32 v9, v9, v10, 0x0                   // scale to BPE
v_cndmask_b32 v9, -1, v9, s[56:57]                 // clip if OOB. offset
v_lshrrev_b32 v17, 8, v22                          // vGWTmp = src >> 8
buffer_store_byte_d16_hi v17, v9, s[sgprSrdD:sgprSrdD+3], 0, offen, offset:0 // store D
_v_add_u32 v11, v5, 0                              // coord1 += nColPerLoad
_v_add_u32 v10, v4, 12                             // coord0 += element index of load vector
_v_add_u32 v9, v6, 0                               // offset coord1 += nColPerLoad
v_cmp_lt_u32 s[54:55], v10, s[sgprSizeI]           // coord0 < size0
v_cmp_lt_u32 s[56:57], v11, s[sgprSizeJ]           // coord1 < size1
s_and_b64 s[56:57], s[54:55], s[56:57]             // in0 && in1
v_mul_lo_u32 v9, v9, s[sgprStrideD1J]              // coord1 element offset =  coord1 * StrideD
_v_add_lshl_u32 v9, v9, v10, 0x0                   // scale to BPE
v_cndmask_b32 v9, -1, v9, s[56:57]                 // clip if OOB. offset
buffer_store_byte v23, v9, s[sgprSrdD:sgprSrdD+3], 0, offen, offset:0 // store D
_v_add_u32 v11, v5, 0                              // coord1 += nColPerLoad
_v_add_u32 v10, v4, 13                             // coord0 += element index of load vector
_v_add_u32 v9, v6, 0                               // offset coord1 += nColPerLoad
v_cmp_lt_u32 s[54:55], v10, s[sgprSizeI]           // coord0 < size0
v_cmp_lt_u32 s[56:57], v11, s[sgprSizeJ]           // coord1 < size1
s_and_b64 s[56:57], s[54:55], s[56:57]             // in0 && in1
v_mul_lo_u32 v9, v9, s[sgprStrideD1J]              // coord1 element offset =  coord1 * StrideD
_v_add_lshl_u32 v9, v9, v10, 0x0                   // scale to BPE
v_cndmask_b32 v9, -1, v9, s[56:57]                 // clip if OOB. offset
v_lshrrev_b32 v17, 8, v23                          // vGWTmp = src >> 8
buffer_store_byte v17, v9, s[sgprSrdD:sgprSrdD+3], 0, offen, offset:0 // store D
_v_add_u32 v11, v5, 0                              // coord1 += nColPerLoad
_v_add_u32 v10, v4, 14                             // coord0 += element index of load vector
_v_add_u32 v9, v6, 0                               // offset coord1 += nColPerLoad
v_cmp_lt_u32 s[54:55], v10, s[sgprSizeI]           // coord0 < size0
v_cmp_lt_u32 s[56:57], v11, s[sgprSizeJ]           // coord1 < size1
s_and_b64 s[56:57], s[54:55], s[56:57]             // in0 && in1
v_mul_lo_u32 v9, v9, s[sgprStrideD1J]              // coord1 element offset =  coord1 * StrideD
_v_add_lshl_u32 v9, v9, v10, 0x0                   // scale to BPE
v_cndmask_b32 v9, -1, v9, s[56:57]                 // clip if OOB. offset
buffer_store_byte_d16_hi v23, v9, s[sgprSrdD:sgprSrdD+3], 0, offen, offset:0 // store D
_v_add_u32 v11, v5, 0                              // coord1 += nColPerLoad
_v_add_u32 v10, v4, 15                             // coord0 += element index of load vector
_v_add_u32 v9, v6, 0                               // offset coord1 += nColPerLoad
v_cmp_lt_u32 s[54:55], v10, s[sgprSizeI]           // coord0 < size0
v_cmp_lt_u32 s[56:57], v11, s[sgprSizeJ]           // coord1 < size1
s_and_b64 s[56:57], s[54:55], s[56:57]             // in0 && in1
v_mul_lo_u32 v9, v9, s[sgprStrideD1J]              // coord1 element offset =  coord1 * StrideD
_v_add_lshl_u32 v9, v9, v10, 0x0                   // scale to BPE
v_cndmask_b32 v9, -1, v9, s[56:57]                 // clip if OOB. offset
v_lshrrev_b32 v17, 8, v23                          // vGWTmp = src >> 8
buffer_store_byte_d16_hi v17, v9, s[sgprSrdD:sgprSrdD+3], 0, offen, offset:0 // store D
s_waitcnt lgkmcnt(0)                               // wait for LDS read
_v_add_u32 v11, v5, 4                              // coord1 += nColPerLoad
_v_add_u32 v10, v4, 0                              // coord0 += element index of load vector
_v_add_u32 v9, v6, 4                               // offset coord1 += nColPerLoad
v_cmp_lt_u32 s[54:55], v10, s[sgprSizeI]           // coord0 < size0
v_cmp_lt_u32 s[56:57], v11, s[sgprSizeJ]           // coord1 < size1
s_and_b64 s[56:57], s[54:55], s[56:57]             // in0 && in1
v_mul_lo_u32 v9, v9, s[sgprStrideD1J]              // coord1 element offset =  coord1 * StrideD
_v_add_lshl_u32 v9, v9, v10, 0x0                   // scale to BPE
v_cndmask_b32 v9, -1, v9, s[56:57]                 // clip if OOB. offset
buffer_store_byte v24, v9, s[sgprSrdD:sgprSrdD+3], 0, offen, offset:0 // store D
_v_add_u32 v11, v5, 4                              // coord1 += nColPerLoad
_v_add_u32 v10, v4, 1                              // coord0 += element index of load vector
_v_add_u32 v9, v6, 4                               // offset coord1 += nColPerLoad
v_cmp_lt_u32 s[54:55], v10, s[sgprSizeI]           // coord0 < size0
v_cmp_lt_u32 s[56:57], v11, s[sgprSizeJ]           // coord1 < size1
s_and_b64 s[56:57], s[54:55], s[56:57]             // in0 && in1
v_mul_lo_u32 v9, v9, s[sgprStrideD1J]              // coord1 element offset =  coord1 * StrideD
_v_add_lshl_u32 v9, v9, v10, 0x0                   // scale to BPE
v_cndmask_b32 v9, -1, v9, s[56:57]                 // clip if OOB. offset
v_lshrrev_b32 v17, 8, v24                          // vGWTmp = src >> 8
buffer_store_byte v17, v9, s[sgprSrdD:sgprSrdD+3], 0, offen, offset:0 // store D
_v_add_u32 v11, v5, 4                              // coord1 += nColPerLoad
_v_add_u32 v10, v4, 2                              // coord0 += element index of load vector
_v_add_u32 v9, v6, 4                               // offset coord1 += nColPerLoad
v_cmp_lt_u32 s[54:55], v10, s[sgprSizeI]           // coord0 < size0
v_cmp_lt_u32 s[56:57], v11, s[sgprSizeJ]           // coord1 < size1
s_and_b64 s[56:57], s[54:55], s[56:57]             // in0 && in1
v_mul_lo_u32 v9, v9, s[sgprStrideD1J]              // coord1 element offset =  coord1 * StrideD
_v_add_lshl_u32 v9, v9, v10, 0x0                   // scale to BPE
v_cndmask_b32 v9, -1, v9, s[56:57]                 // clip if OOB. offset
buffer_store_byte_d16_hi v24, v9, s[sgprSrdD:sgprSrdD+3], 0, offen, offset:0 // store D
_v_add_u32 v11, v5, 4                              // coord1 += nColPerLoad
_v_add_u32 v10, v4, 3                              // coord0 += element index of load vector
_v_add_u32 v9, v6, 4                               // offset coord1 += nColPerLoad
v_cmp_lt_u32 s[54:55], v10, s[sgprSizeI]           // coord0 < size0
v_cmp_lt_u32 s[56:57], v11, s[sgprSizeJ]           // coord1 < size1
s_and_b64 s[56:57], s[54:55], s[56:57]             // in0 && in1
v_mul_lo_u32 v9, v9, s[sgprStrideD1J]              // coord1 element offset =  coord1 * StrideD
_v_add_lshl_u32 v9, v9, v10, 0x0                   // scale to BPE
v_cndmask_b32 v9, -1, v9, s[56:57]                 // clip if OOB. offset
v_lshrrev_b32 v17, 8, v24                          // vGWTmp = src >> 8
buffer_store_byte_d16_hi v17, v9, s[sgprSrdD:sgprSrdD+3], 0, offen, offset:0 // store D
_v_add_u32 v11, v5, 4                              // coord1 += nColPerLoad
_v_add_u32 v10, v4, 4                              // coord0 += element index of load vector
_v_add_u32 v9, v6, 4                               // offset coord1 += nColPerLoad
v_cmp_lt_u32 s[54:55], v10, s[sgprSizeI]           // coord0 < size0
v_cmp_lt_u32 s[56:57], v11, s[sgprSizeJ]           // coord1 < size1
s_and_b64 s[56:57], s[54:55], s[56:57]             // in0 && in1
v_mul_lo_u32 v9, v9, s[sgprStrideD1J]              // coord1 element offset =  coord1 * StrideD
_v_add_lshl_u32 v9, v9, v10, 0x0                   // scale to BPE
v_cndmask_b32 v9, -1, v9, s[56:57]                 // clip if OOB. offset
buffer_store_byte v25, v9, s[sgprSrdD:sgprSrdD+3], 0, offen, offset:0 // store D
_v_add_u32 v11, v5, 4                              // coord1 += nColPerLoad
_v_add_u32 v10, v4, 5                              // coord0 += element index of load vector
_v_add_u32 v9, v6, 4                               // offset coord1 += nColPerLoad
v_cmp_lt_u32 s[54:55], v10, s[sgprSizeI]           // coord0 < size0
v_cmp_lt_u32 s[56:57], v11, s[sgprSizeJ]           // coord1 < size1
s_and_b64 s[56:57], s[54:55], s[56:57]             // in0 && in1
v_mul_lo_u32 v9, v9, s[sgprStrideD1J]              // coord1 element offset =  coord1 * StrideD
_v_add_lshl_u32 v9, v9, v10, 0x0                   // scale to BPE
v_cndmask_b32 v9, -1, v9, s[56:57]                 // clip if OOB. offset
v_lshrrev_b32 v17, 8, v25                          // vGWTmp = src >> 8
buffer_store_byte v17, v9, s[sgprSrdD:sgprSrdD+3], 0, offen, offset:0 // store D
_v_add_u32 v11, v5, 4                              // coord1 += nColPerLoad
_v_add_u32 v10, v4, 6                              // coord0 += element index of load vector
_v_add_u32 v9, v6, 4                               // offset coord1 += nColPerLoad
v_cmp_lt_u32 s[54:55], v10, s[sgprSizeI]           // coord0 < size0
v_cmp_lt_u32 s[56:57], v11, s[sgprSizeJ]           // coord1 < size1
s_and_b64 s[56:57], s[54:55], s[56:57]             // in0 && in1
v_mul_lo_u32 v9, v9, s[sgprStrideD1J]              // coord1 element offset =  coord1 * StrideD
_v_add_lshl_u32 v9, v9, v10, 0x0                   // scale to BPE
v_cndmask_b32 v9, -1, v9, s[56:57]                 // clip if OOB. offset
buffer_store_byte_d16_hi v25, v9, s[sgprSrdD:sgprSrdD+3], 0, offen, offset:0 // store D
_v_add_u32 v11, v5, 4                              // coord1 += nColPerLoad
_v_add_u32 v10, v4, 7                              // coord0 += element index of load vector
_v_add_u32 v9, v6, 4                               // offset coord1 += nColPerLoad
v_cmp_lt_u32 s[54:55], v10, s[sgprSizeI]           // coord0 < size0
v_cmp_lt_u32 s[56:57], v11, s[sgprSizeJ]           // coord1 < size1
s_and_b64 s[56:57], s[54:55], s[56:57]             // in0 && in1
v_mul_lo_u32 v9, v9, s[sgprStrideD1J]              // coord1 element offset =  coord1 * StrideD
_v_add_lshl_u32 v9, v9, v10, 0x0                   // scale to BPE
v_cndmask_b32 v9, -1, v9, s[56:57]                 // clip if OOB. offset
v_lshrrev_b32 v17, 8, v25                          // vGWTmp = src >> 8
buffer_store_byte_d16_hi v17, v9, s[sgprSrdD:sgprSrdD+3], 0, offen, offset:0 // store D
_v_add_u32 v11, v5, 4                              // coord1 += nColPerLoad
_v_add_u32 v10, v4, 8                              // coord0 += element index of load vector
_v_add_u32 v9, v6, 4                               // offset coord1 += nColPerLoad
v_cmp_lt_u32 s[54:55], v10, s[sgprSizeI]           // coord0 < size0
v_cmp_lt_u32 s[56:57], v11, s[sgprSizeJ]           // coord1 < size1
s_and_b64 s[56:57], s[54:55], s[56:57]             // in0 && in1
v_mul_lo_u32 v9, v9, s[sgprStrideD1J]              // coord1 element offset =  coord1 * StrideD
_v_add_lshl_u32 v9, v9, v10, 0x0                   // scale to BPE
v_cndmask_b32 v9, -1, v9, s[56:57]                 // clip if OOB. offset
buffer_store_byte v26, v9, s[sgprSrdD:sgprSrdD+3], 0, offen, offset:0 // store D
_v_add_u32 v11, v5, 4                              // coord1 += nColPerLoad
_v_add_u32 v10, v4, 9                              // coord0 += element index of load vector
_v_add_u32 v9, v6, 4                               // offset coord1 += nColPerLoad
v_cmp_lt_u32 s[54:55], v10, s[sgprSizeI]           // coord0 < size0
v_cmp_lt_u32 s[56:57], v11, s[sgprSizeJ]           // coord1 < size1
s_and_b64 s[56:57], s[54:55], s[56:57]             // in0 && in1
v_mul_lo_u32 v9, v9, s[sgprStrideD1J]              // coord1 element offset =  coord1 * StrideD
_v_add_lshl_u32 v9, v9, v10, 0x0                   // scale to BPE
v_cndmask_b32 v9, -1, v9, s[56:57]                 // clip if OOB. offset
v_lshrrev_b32 v17, 8, v26                          // vGWTmp = src >> 8
buffer_store_byte v17, v9, s[sgprSrdD:sgprSrdD+3], 0, offen, offset:0 // store D
_v_add_u32 v11, v5, 4                              // coord1 += nColPerLoad
_v_add_u32 v10, v4, 10                             // coord0 += element index of load vector
_v_add_u32 v9, v6, 4                               // offset coord1 += nColPerLoad
v_cmp_lt_u32 s[54:55], v10, s[sgprSizeI]           // coord0 < size0
v_cmp_lt_u32 s[56:57], v11, s[sgprSizeJ]           // coord1 < size1
s_and_b64 s[56:57], s[54:55], s[56:57]             // in0 && in1
v_mul_lo_u32 v9, v9, s[sgprStrideD1J]              // coord1 element offset =  coord1 * StrideD
_v_add_lshl_u32 v9, v9, v10, 0x0                   // scale to BPE
v_cndmask_b32 v9, -1, v9, s[56:57]                 // clip if OOB. offset
buffer_store_byte_d16_hi v26, v9, s[sgprSrdD:sgprSrdD+3], 0, offen, offset:0 // store D
_v_add_u32 v11, v5, 4                              // coord1 += nColPerLoad
_v_add_u32 v10, v4, 11                             // coord0 += element index of load vector
_v_add_u32 v9, v6, 4                               // offset coord1 += nColPerLoad
v_cmp_lt_u32 s[54:55], v10, s[sgprSizeI]           // coord0 < size0
v_cmp_lt_u32 s[56:57], v11, s[sgprSizeJ]           // coord1 < size1
s_and_b64 s[56:57], s[54:55], s[56:57]             // in0 && in1
v_mul_lo_u32 v9, v9, s[sgprStrideD1J]              // coord1 element offset =  coord1 * StrideD
_v_add_lshl_u32 v9, v9, v10, 0x0                   // scale to BPE
v_cndmask_b32 v9, -1, v9, s[56:57]                 // clip if OOB. offset
v_lshrrev_b32 v17, 8, v26                          // vGWTmp = src >> 8
buffer_store_byte_d16_hi v17, v9, s[sgprSrdD:sgprSrdD+3], 0, offen, offset:0 // store D
_v_add_u32 v11, v5, 4                              // coord1 += nColPerLoad
_v_add_u32 v10, v4, 12                             // coord0 += element index of load vector
_v_add_u32 v9, v6, 4                               // offset coord1 += nColPerLoad
v_cmp_lt_u32 s[54:55], v10, s[sgprSizeI]           // coord0 < size0
v_cmp_lt_u32 s[56:57], v11, s[sgprSizeJ]           // coord1 < size1
s_and_b64 s[56:57], s[54:55], s[56:57]             // in0 && in1
v_mul_lo_u32 v9, v9, s[sgprStrideD1J]              // coord1 element offset =  coord1 * StrideD
_v_add_lshl_u32 v9, v9, v10, 0x0                   // scale to BPE
v_cndmask_b32 v9, -1, v9, s[56:57]                 // clip if OOB. offset
buffer_store_byte v27, v9, s[sgprSrdD:sgprSrdD+3], 0, offen, offset:0 // store D
_v_add_u32 v11, v5, 4                              // coord1 += nColPerLoad
_v_add_u32 v10, v4, 13                             // coord0 += element index of load vector
_v_add_u32 v9, v6, 4                               // offset coord1 += nColPerLoad
v_cmp_lt_u32 s[54:55], v10, s[sgprSizeI]           // coord0 < size0
v_cmp_lt_u32 s[56:57], v11, s[sgprSizeJ]           // coord1 < size1
s_and_b64 s[56:57], s[54:55], s[56:57]             // in0 && in1
v_mul_lo_u32 v9, v9, s[sgprStrideD1J]              // coord1 element offset =  coord1 * StrideD
_v_add_lshl_u32 v9, v9, v10, 0x0                   // scale to BPE
v_cndmask_b32 v9, -1, v9, s[56:57]                 // clip if OOB. offset
v_lshrrev_b32 v17, 8, v27                          // vGWTmp = src >> 8
buffer_store_byte v17, v9, s[sgprSrdD:sgprSrdD+3], 0, offen, offset:0 // store D
_v_add_u32 v11, v5, 4                              // coord1 += nColPerLoad
_v_add_u32 v10, v4, 14                             // coord0 += element index of load vector
_v_add_u32 v9, v6, 4                               // offset coord1 += nColPerLoad
v_cmp_lt_u32 s[54:55], v10, s[sgprSizeI]           // coord0 < size0
v_cmp_lt_u32 s[56:57], v11, s[sgprSizeJ]           // coord1 < size1
s_and_b64 s[56:57], s[54:55], s[56:57]             // in0 && in1
v_mul_lo_u32 v9, v9, s[sgprStrideD1J]              // coord1 element offset =  coord1 * StrideD
_v_add_lshl_u32 v9, v9, v10, 0x0                   // scale to BPE
v_cndmask_b32 v9, -1, v9, s[56:57]                 // clip if OOB. offset
buffer_store_byte_d16_hi v27, v9, s[sgprSrdD:sgprSrdD+3], 0, offen, offset:0 // store D
_v_add_u32 v11, v5, 4                              // coord1 += nColPerLoad
_v_add_u32 v10, v4, 15                             // coord0 += element index of load vector
_v_add_u32 v9, v6, 4                               // offset coord1 += nColPerLoad
v_cmp_lt_u32 s[54:55], v10, s[sgprSizeI]           // coord0 < size0
v_cmp_lt_u32 s[56:57], v11, s[sgprSizeJ]           // coord1 < size1
s_and_b64 s[56:57], s[54:55], s[56:57]             // in0 && in1
v_mul_lo_u32 v9, v9, s[sgprStrideD1J]              // coord1 element offset =  coord1 * StrideD
_v_add_lshl_u32 v9, v9, v10, 0x0                   // scale to BPE
v_cndmask_b32 v9, -1, v9, s[56:57]                 // clip if OOB. offset
v_lshrrev_b32 v17, 8, v27                          // vGWTmp = src >> 8
buffer_store_byte_d16_hi v17, v9, s[sgprSrdD:sgprSrdD+3], 0, offen, offset:0 // store D

s_barrier //wait all lds read finished
s_nop 0                                            // 1 wait state required when next inst writes vgprs held by previous dwordx4 store inst
/* optSingleColVgpr=0 optSharedColVgpr=0 optSGPRUsage=BufferLoad_Edge_Mask optSrdIncForRow=1 */

/******************************************/
/* Global Write Alpha Beta Edge Batch #8 (d1,d0,vc1,vc0) = */
/*    (2,0,0,0:vw1); (2,0,0,1:vw1); (2,0,0,2:vw1); (2,0,0,3:vw1); (2,1,0,0:vw1); (2,1,0,1:vw1); (2,1,0,2:vw1); (2,1,0,3:vw1) */
/******************************************/

/* calc coords, apply mask, and issue loads (if necessary) */
/* (d1,vc1,d0,vc0)=(2,0,0,0) */
_v_add_co_u32 v1, vcc, v1, 32                      // coord1.1: coord1Vgpr += d1*sg1*VW + vc1
v_cmp_lt_u32 s[54:55], v0, s[sgprSizeI]            // coord0 < size0
v_cmp_lt_u32 s[58:59], v1, s[sgprSizeJ]            // coord1 < size1
s_and_b64 s[58:59], s[54:55], s[58:59]             // in0 && in1
_v_add_lshl_u32 v9, v2, v0, 0x0                    // scaleToBpe: accumulate d0 lower and *= bpe into Cin addr
v_cndmask_b32 v9, -1, v9, s[58:59]                 // LDC clip if OOB. offset
s_mul_i32 s54, s[sgprStrideC1J], 32                // scale StrideC *= numRows(32) * bpe
s_add_u32  s[sgprSrdC+0], s[sgprSrdC+0], s54       // incToNextRow: gra SRD += inc(lower)
s_addc_u32  s[sgprSrdC+1], s[sgprSrdC+1], 0        // incToNextRow: gra SRD += inc(upper)
buffer_load_ubyte v17, v9, s[sgprSrdC:sgprSrdC+3], 0, offen offset:0 // load C for beta calc
_v_add_lshl_u32 v9, v3, v0, 0x0                    // scaleToBpe: accumulate d0 lower and *= bpe into Cin addr
v_cndmask_b32 v9, -1, v9, s[58:59]                 // LDD clip if OOB. offset
/* (d1,vc1,d0,vc0)=(2,0,0,1) */
_v_add_co_u32 v10, vcc, v0, 1                      // coord0.1: coord0 += d0*sg0*VW + vc0
v_cmp_lt_u32 s[54:55], v10, s[sgprSizeI]           // coord0 < size0
v_cmp_lt_u32 s[58:59], v1, s[sgprSizeJ]            // coord1 < size1
s_and_b64 s[58:59], s[54:55], s[58:59]             // in0 && in1
_v_add_lshl_u32 v19, v2, v10, 0x0                  // scaleToBpe: accumulate d0 lower and *= bpe into Cin addr
v_cndmask_b32 v19, -1, v19, s[58:59]               // LDC clip if OOB. offset
buffer_load_ubyte v20, v19, s[sgprSrdC:sgprSrdC+3], 0, offen offset:0 // load C for beta calc
_v_add_lshl_u32 v19, v3, v10, 0x0                  // scaleToBpe: accumulate d0 lower and *= bpe into Cin addr
v_cndmask_b32 v19, -1, v19, s[58:59]               // LDD clip if OOB. offset
/* (d1,vc1,d0,vc0)=(2,0,0,2) */
_v_add_co_u32 v10, vcc, v0, 2                      // coord0.1: coord0 += d0*sg0*VW + vc0
v_cmp_lt_u32 s[54:55], v10, s[sgprSizeI]           // coord0 < size0
v_cmp_lt_u32 s[58:59], v1, s[sgprSizeJ]            // coord1 < size1
s_and_b64 s[58:59], s[54:55], s[58:59]             // in0 && in1
_v_add_lshl_u32 v22, v2, v10, 0x0                  // scaleToBpe: accumulate d0 lower and *= bpe into Cin addr
v_cndmask_b32 v22, -1, v22, s[58:59]               // LDC clip if OOB. offset
buffer_load_ubyte v23, v22, s[sgprSrdC:sgprSrdC+3], 0, offen offset:0 // load C for beta calc
_v_add_lshl_u32 v22, v3, v10, 0x0                  // scaleToBpe: accumulate d0 lower and *= bpe into Cin addr
v_cndmask_b32 v22, -1, v22, s[58:59]               // LDD clip if OOB. offset
	;; [unrolled: 10-line block ×5, first 2 shown]
/* (d1,vc1,d0,vc0)=(2,0,1,2) */
_v_add_co_u32 v10, vcc, v0, 10                     // coord0.1: coord0 += d0*sg0*VW + vc0
v_cmp_lt_u32 s[54:55], v10, s[sgprSizeI]           // coord0 < size0
v_cmp_lt_u32 s[58:59], v1, s[sgprSizeJ]            // coord1 < size1
s_and_b64 s[58:59], s[54:55], s[58:59]             // in0 && in1
_v_add_lshl_u32 v34, v2, v10, 0x0                  // scaleToBpe: accumulate d0 lower and *= bpe into Cin addr
v_cndmask_b32 v34, -1, v34, s[58:59]               // LDC clip if OOB. offset
buffer_load_ubyte v35, v34, s[sgprSrdC:sgprSrdC+3], 0, offen offset:0 // load C for beta calc
_v_add_lshl_u32 v34, v3, v10, 0x0                  // scaleToBpe: accumulate d0 lower and *= bpe into Cin addr
v_cndmask_b32 v34, -1, v34, s[58:59]               // LDD clip if OOB. offset
/* (d1,vc1,d0,vc0)=(2,0,1,3) */
_v_add_co_u32 v10, vcc, v0, 11                     // coord0.1: coord0 += d0*sg0*VW + vc0
v_cmp_lt_u32 s[54:55], v10, s[sgprSizeI]           // coord0 < size0
v_cmp_lt_u32 s[58:59], v1, s[sgprSizeJ]            // coord1 < size1
s_and_b64 s[58:59], s[54:55], s[58:59]             // in0 && in1
_v_add_lshl_u32 v37, v2, v10, 0x0                  // scaleToBpe: accumulate d0 lower and *= bpe into Cin addr
v_cndmask_b32 v37, -1, v37, s[58:59]               // LDC clip if OOB. offset
buffer_load_ubyte v38, v37, s[sgprSrdC:sgprSrdC+3], 0, offen offset:0 // load C for beta calc
_v_add_lshl_u32 v37, v3, v10, 0x0                  // scaleToBpe: accumulate d0 lower and *= bpe into Cin addr
v_cndmask_b32 v37, -1, v37, s[58:59]               // LDD clip if OOB. offset
v_accvgpr_read_b32 v[vgprValuC+18], acc64 // copy acc to vreg[64]
v_accvgpr_read_b32 v[vgprValuC+21], acc65 // copy acc to vreg[65]
v_accvgpr_read_b32 v[vgprValuC+24], acc66 // copy acc to vreg[66]
v_accvgpr_read_b32 v[vgprValuC+27], acc67 // copy acc to vreg[67]
v_accvgpr_read_b32 v[vgprValuC+30], acc68 // copy acc to vreg[68]
v_accvgpr_read_b32 v[vgprValuC+33], acc69 // copy acc to vreg[69]
v_accvgpr_read_b32 v[vgprValuC+36], acc70 // copy acc to vreg[70]
v_accvgpr_read_b32 v[vgprValuC+39], acc71 // copy acc to vreg[71]
s_nop 1                                            // 2 wait states required before reading vgpr

/* rC *= alpha batchElements=[(2, 0, 0, 0), (2, 0, 0, 1), (2, 0, 0, 2), (2, 0, 0, 3), (2, 1, 0, 0), (2, 1, 0, 1), (2, 1, 0, 2), (2, 1, 0, 3)] */
v_mul_f32 v[vgprValuC+18], s[sgprAlpha], v[vgprValuC+18] // *= alpha
v_mul_f32 v[vgprValuC+21], s[sgprAlpha], v[vgprValuC+21] // *= alpha
	;; [unrolled: 1-line block ×8, first 2 shown]
s_waitcnt vmcnt(0)                                 // wait C

/* apply mask, calc new C and issue writes */
v_mov_b32 v16, 0x207                               // flag for Nan and +/- inf
v_mov_b32 v14, 0x43700000                          // save 240.0f as max for clipping
v_mov_b32 v15, 0xC3700000                          // save -240.0f as min for clipping

/* StoreRemap: shift coord1 address */
s_mul_i32 s54, s[sgprStrideD1J], 32                // scale StrideD *= numRows(32) * bpe
s_add_u32  s[sgprSrdD+0], s[sgprSrdD+0], s54       // incToNextRow: gra SRD += inc(lower)
s_addc_u32  s[sgprSrdD+1], s[sgprSrdD+1], 0        // incToNextRow: gra SRD += inc(upper)
v_mov_b32 v10, 32                                  // set shift rows
_v_add_u32 v5, v5, v10                             // shift storeRemap coord1
v_cvt_f32_fp8 v12, v17 src0_sel:BYTE_0   // convert fp8 in lo_byte[0] to f32
_v_mac_f32 v[vgprValuC+18], v12, s[sgprBeta]       // finalSum = sum*alpha + C*beta
v_cmp_class_f32 s[54:55], v[vgprValuC+18], v16     // check NaN and +/-INF
v_med3_f32 v12, v[vgprValuC+18], v14, v15          // Clipping f32 value if exceeds the limit
v_cndmask_b32 v12, v12, v[vgprValuC+18], s[54:55]  // 
v_cvt_pk_fp8_f32  v18, v12, v12                    // convert f32 accumulated values to fp8
ds_write_b8 v7, v18, offset:0                      // storeRemap lw
v_cvt_f32_fp8 v12, v20 src0_sel:BYTE_0   // convert fp8 in lo_byte[0] to f32
_v_mac_f32 v[vgprValuC+21], v12, s[sgprBeta]       // finalSum = sum*alpha + C*beta
v_cmp_class_f32 s[54:55], v[vgprValuC+21], v16     // check NaN and +/-INF
v_med3_f32 v12, v[vgprValuC+21], v14, v15          // Clipping f32 value if exceeds the limit
v_cndmask_b32 v12, v12, v[vgprValuC+21], s[54:55]  // 
v_cvt_pk_fp8_f32  v21, v12, v12                    // convert f32 accumulated values to fp8
ds_write_b8 v7, v21, offset:1                      // storeRemap lw
	;; [unrolled: 7-line block ×6, first 2 shown]
v_cvt_f32_fp8 v12, v35 src0_sel:BYTE_0   // convert fp8 in lo_byte[0] to f32
_v_mac_f32 v[vgprValuC+36], v12, s[sgprBeta]       // finalSum = sum*alpha + C*beta
v_cmp_class_f32 s[54:55], v[vgprValuC+36], v16     // check NaN and +/-INF
v_med3_f32 v12, v[vgprValuC+36], v14, v15          // Clipping f32 value if exceeds the limit
v_cndmask_b32 v12, v12, v[vgprValuC+36], s[54:55]  // 
v_cvt_pk_fp8_f32  v36, v12, v12                    // convert f32 accumulated values to fp8
ds_write_b8 v7, v36, offset:10                     // storeRemap lw
v_cvt_f32_fp8 v12, v38 src0_sel:BYTE_0   // convert fp8 in lo_byte[0] to f32
_v_mac_f32 v[vgprValuC+39], v12, s[sgprBeta]       // finalSum = sum*alpha + C*beta
v_cmp_class_f32 s[54:55], v[vgprValuC+39], v16     // check NaN and +/-INF
v_med3_f32 v12, v[vgprValuC+39], v14, v15          // Clipping f32 value if exceeds the limit
v_cndmask_b32 v12, v12, v[vgprValuC+39], s[54:55]  // 
v_cvt_pk_fp8_f32  v39, v12, v12                    // convert f32 accumulated values to fp8
ds_write_b8 v7, v39, offset:11                     // storeRemap lw
s_nop 0                                            // 1 wait state required when next inst writes vgprs held by previous dwordx4 store inst
/* optSingleColVgpr=0 optSharedColVgpr=0 optSGPRUsage=BufferLoad_Edge_Mask optSrdIncForRow=1 */

/******************************************/
/* Global Write Alpha Beta Edge Batch #9 (d1,d0,vc1,vc0) = */
/*    (2,2,0,0:vw1); (2,2,0,1:vw1); (2,2,0,2:vw1); (2,2,0,3:vw1); (2,3,0,0:vw1); (2,3,0,1:vw1); (2,3,0,2:vw1); (2,3,0,3:vw1) */
/******************************************/

/* calc coords, apply mask, and issue loads (if necessary) */
/* (d1,vc1,d0,vc0)=(2,0,2,0) */
_v_add_co_u32 v10, vcc, v0, 16                     // coord0.1: coord0 += d0*sg0*VW + vc0
v_cmp_lt_u32 s[54:55], v10, s[sgprSizeI]           // coord0 < size0
v_cmp_lt_u32 s[58:59], v1, s[sgprSizeJ]            // coord1 < size1
s_and_b64 s[58:59], s[54:55], s[58:59]             // in0 && in1
_v_add_lshl_u32 v9, v2, v10, 0x0                   // scaleToBpe: accumulate d0 lower and *= bpe into Cin addr
v_cndmask_b32 v9, -1, v9, s[58:59]                 // LDC clip if OOB. offset
buffer_load_ubyte v17, v9, s[sgprSrdC:sgprSrdC+3], 0, offen offset:0 // load C for beta calc
_v_add_lshl_u32 v9, v3, v10, 0x0                   // scaleToBpe: accumulate d0 lower and *= bpe into Cin addr
v_cndmask_b32 v9, -1, v9, s[58:59]                 // LDD clip if OOB. offset
/* (d1,vc1,d0,vc0)=(2,0,2,1) */
_v_add_co_u32 v10, vcc, v0, 17                     // coord0.1: coord0 += d0*sg0*VW + vc0
v_cmp_lt_u32 s[54:55], v10, s[sgprSizeI]           // coord0 < size0
v_cmp_lt_u32 s[58:59], v1, s[sgprSizeJ]            // coord1 < size1
s_and_b64 s[58:59], s[54:55], s[58:59]             // in0 && in1
_v_add_lshl_u32 v19, v2, v10, 0x0                  // scaleToBpe: accumulate d0 lower and *= bpe into Cin addr
v_cndmask_b32 v19, -1, v19, s[58:59]               // LDC clip if OOB. offset
buffer_load_ubyte v20, v19, s[sgprSrdC:sgprSrdC+3], 0, offen offset:0 // load C for beta calc
_v_add_lshl_u32 v19, v3, v10, 0x0                  // scaleToBpe: accumulate d0 lower and *= bpe into Cin addr
v_cndmask_b32 v19, -1, v19, s[58:59]               // LDD clip if OOB. offset
/* (d1,vc1,d0,vc0)=(2,0,2,2) */
_v_add_co_u32 v10, vcc, v0, 18                     // coord0.1: coord0 += d0*sg0*VW + vc0
v_cmp_lt_u32 s[54:55], v10, s[sgprSizeI]           // coord0 < size0
v_cmp_lt_u32 s[58:59], v1, s[sgprSizeJ]            // coord1 < size1
s_and_b64 s[58:59], s[54:55], s[58:59]             // in0 && in1
_v_add_lshl_u32 v22, v2, v10, 0x0                  // scaleToBpe: accumulate d0 lower and *= bpe into Cin addr
v_cndmask_b32 v22, -1, v22, s[58:59]               // LDC clip if OOB. offset
buffer_load_ubyte v23, v22, s[sgprSrdC:sgprSrdC+3], 0, offen offset:0 // load C for beta calc
_v_add_lshl_u32 v22, v3, v10, 0x0                  // scaleToBpe: accumulate d0 lower and *= bpe into Cin addr
v_cndmask_b32 v22, -1, v22, s[58:59]               // LDD clip if OOB. offset
	;; [unrolled: 10-line block ×7, first 2 shown]
v_accvgpr_read_b32 v[vgprValuC+18], acc72 // copy acc to vreg[72]
v_accvgpr_read_b32 v[vgprValuC+21], acc73 // copy acc to vreg[73]
v_accvgpr_read_b32 v[vgprValuC+24], acc74 // copy acc to vreg[74]
v_accvgpr_read_b32 v[vgprValuC+27], acc75 // copy acc to vreg[75]
v_accvgpr_read_b32 v[vgprValuC+30], acc76 // copy acc to vreg[76]
v_accvgpr_read_b32 v[vgprValuC+33], acc77 // copy acc to vreg[77]
v_accvgpr_read_b32 v[vgprValuC+36], acc78 // copy acc to vreg[78]
v_accvgpr_read_b32 v[vgprValuC+39], acc79 // copy acc to vreg[79]
s_nop 1                                            // 2 wait states required before reading vgpr

/* rC *= alpha batchElements=[(2, 2, 0, 0), (2, 2, 0, 1), (2, 2, 0, 2), (2, 2, 0, 3), (2, 3, 0, 0), (2, 3, 0, 1), (2, 3, 0, 2), (2, 3, 0, 3)] */
v_mul_f32 v[vgprValuC+18], s[sgprAlpha], v[vgprValuC+18] // *= alpha
v_mul_f32 v[vgprValuC+21], s[sgprAlpha], v[vgprValuC+21] // *= alpha
	;; [unrolled: 1-line block ×8, first 2 shown]
s_waitcnt vmcnt(0)                                 // wait C

/* apply mask, calc new C and issue writes */
v_mov_b32 v16, 0x207                               // flag for Nan and +/- inf
v_mov_b32 v14, 0x43700000                          // save 240.0f as max for clipping
v_mov_b32 v15, 0xC3700000                          // save -240.0f as min for clipping
v_cvt_f32_fp8 v12, v17 src0_sel:BYTE_0   // convert fp8 in lo_byte[0] to f32
_v_mac_f32 v[vgprValuC+18], v12, s[sgprBeta]       // finalSum = sum*alpha + C*beta
v_cmp_class_f32 s[54:55], v[vgprValuC+18], v16     // check NaN and +/-INF
v_med3_f32 v12, v[vgprValuC+18], v14, v15          // Clipping f32 value if exceeds the limit
v_cndmask_b32 v12, v12, v[vgprValuC+18], s[54:55]  // 
v_cvt_pk_fp8_f32  v18, v12, v12                    // convert f32 accumulated values to fp8
ds_write_b8 v7, v18, offset:16                     // storeRemap lw
v_cvt_f32_fp8 v12, v20 src0_sel:BYTE_0   // convert fp8 in lo_byte[0] to f32
_v_mac_f32 v[vgprValuC+21], v12, s[sgprBeta]       // finalSum = sum*alpha + C*beta
v_cmp_class_f32 s[54:55], v[vgprValuC+21], v16     // check NaN and +/-INF
v_med3_f32 v12, v[vgprValuC+21], v14, v15          // Clipping f32 value if exceeds the limit
v_cndmask_b32 v12, v12, v[vgprValuC+21], s[54:55]  // 
v_cvt_pk_fp8_f32  v21, v12, v12                    // convert f32 accumulated values to fp8
ds_write_b8 v7, v21, offset:17                     // storeRemap lw
	;; [unrolled: 7-line block ×8, first 2 shown]
s_nop 0                                            // 1 wait state required when next inst writes vgprs held by previous dwordx4 store inst
/* optSingleColVgpr=0 optSharedColVgpr=0 optSGPRUsage=BufferLoad_Edge_Mask optSrdIncForRow=1 */

/******************************************/
/* Global Write Alpha Beta Edge Batch #10 (d1,d0,vc1,vc0) = */
/*    (2,4,0,0:vw1); (2,4,0,1:vw1); (2,4,0,2:vw1); (2,4,0,3:vw1); (2,5,0,0:vw1); (2,5,0,1:vw1); (2,5,0,2:vw1); (2,5,0,3:vw1) */
/******************************************/

/* calc coords, apply mask, and issue loads (if necessary) */
/* (d1,vc1,d0,vc0)=(2,0,4,0) */
s_mov_b32 s54, 128                                 // coordOffset0 d0=4 vc0=0
_v_add_co_u32 v10, vcc, v0, s54                    // coord0.2: coord0 += d0*sg0*VW + vc0
v_cmp_lt_u32 s[54:55], v10, s[sgprSizeI]           // coord0 < size0
v_cmp_lt_u32 s[58:59], v1, s[sgprSizeJ]            // coord1 < size1
s_and_b64 s[58:59], s[54:55], s[58:59]             // in0 && in1
_v_add_lshl_u32 v9, v2, v10, 0x0                   // scaleToBpe: accumulate d0 lower and *= bpe into Cin addr
v_cndmask_b32 v9, -1, v9, s[58:59]                 // LDC clip if OOB. offset
buffer_load_ubyte v17, v9, s[sgprSrdC:sgprSrdC+3], 0, offen offset:0 // load C for beta calc
_v_add_lshl_u32 v9, v3, v10, 0x0                   // scaleToBpe: accumulate d0 lower and *= bpe into Cin addr
v_cndmask_b32 v9, -1, v9, s[58:59]                 // LDD clip if OOB. offset
/* (d1,vc1,d0,vc0)=(2,0,4,1) */
s_mov_b32 s54, 129                                 // coordOffset0 d0=4 vc0=1
_v_add_co_u32 v10, vcc, v0, s54                    // coord0.2: coord0 += d0*sg0*VW + vc0
v_cmp_lt_u32 s[54:55], v10, s[sgprSizeI]           // coord0 < size0
v_cmp_lt_u32 s[58:59], v1, s[sgprSizeJ]            // coord1 < size1
s_and_b64 s[58:59], s[54:55], s[58:59]             // in0 && in1
_v_add_lshl_u32 v19, v2, v10, 0x0                  // scaleToBpe: accumulate d0 lower and *= bpe into Cin addr
v_cndmask_b32 v19, -1, v19, s[58:59]               // LDC clip if OOB. offset
buffer_load_ubyte v20, v19, s[sgprSrdC:sgprSrdC+3], 0, offen offset:0 // load C for beta calc
_v_add_lshl_u32 v19, v3, v10, 0x0                  // scaleToBpe: accumulate d0 lower and *= bpe into Cin addr
v_cndmask_b32 v19, -1, v19, s[58:59]               // LDD clip if OOB. offset
/* (d1,vc1,d0,vc0)=(2,0,4,2) */
s_mov_b32 s54, 130                                 // coordOffset0 d0=4 vc0=2
_v_add_co_u32 v10, vcc, v0, s54                    // coord0.2: coord0 += d0*sg0*VW + vc0
v_cmp_lt_u32 s[54:55], v10, s[sgprSizeI]           // coord0 < size0
v_cmp_lt_u32 s[58:59], v1, s[sgprSizeJ]            // coord1 < size1
s_and_b64 s[58:59], s[54:55], s[58:59]             // in0 && in1
_v_add_lshl_u32 v22, v2, v10, 0x0                  // scaleToBpe: accumulate d0 lower and *= bpe into Cin addr
v_cndmask_b32 v22, -1, v22, s[58:59]               // LDC clip if OOB. offset
buffer_load_ubyte v23, v22, s[sgprSrdC:sgprSrdC+3], 0, offen offset:0 // load C for beta calc
_v_add_lshl_u32 v22, v3, v10, 0x0                  // scaleToBpe: accumulate d0 lower and *= bpe into Cin addr
v_cndmask_b32 v22, -1, v22, s[58:59]               // LDD clip if OOB. offset
	;; [unrolled: 11-line block ×7, first 2 shown]
v_accvgpr_read_b32 v[vgprValuC+18], acc80 // copy acc to vreg[80]
v_accvgpr_read_b32 v[vgprValuC+21], acc81 // copy acc to vreg[81]
v_accvgpr_read_b32 v[vgprValuC+24], acc82 // copy acc to vreg[82]
v_accvgpr_read_b32 v[vgprValuC+27], acc83 // copy acc to vreg[83]
v_accvgpr_read_b32 v[vgprValuC+30], acc84 // copy acc to vreg[84]
v_accvgpr_read_b32 v[vgprValuC+33], acc85 // copy acc to vreg[85]
v_accvgpr_read_b32 v[vgprValuC+36], acc86 // copy acc to vreg[86]
v_accvgpr_read_b32 v[vgprValuC+39], acc87 // copy acc to vreg[87]
s_nop 1                                            // 2 wait states required before reading vgpr

/* rC *= alpha batchElements=[(2, 4, 0, 0), (2, 4, 0, 1), (2, 4, 0, 2), (2, 4, 0, 3), (2, 5, 0, 0), (2, 5, 0, 1), (2, 5, 0, 2), (2, 5, 0, 3)] */
v_mul_f32 v[vgprValuC+18], s[sgprAlpha], v[vgprValuC+18] // *= alpha
v_mul_f32 v[vgprValuC+21], s[sgprAlpha], v[vgprValuC+21] // *= alpha
	;; [unrolled: 1-line block ×8, first 2 shown]
s_waitcnt vmcnt(0)                                 // wait C

/* apply mask, calc new C and issue writes */
v_mov_b32 v16, 0x207                               // flag for Nan and +/- inf
v_mov_b32 v14, 0x43700000                          // save 240.0f as max for clipping
v_mov_b32 v15, 0xC3700000                          // save -240.0f as min for clipping
v_cvt_f32_fp8 v12, v17 src0_sel:BYTE_0   // convert fp8 in lo_byte[0] to f32
_v_mac_f32 v[vgprValuC+18], v12, s[sgprBeta]       // finalSum = sum*alpha + C*beta
v_cmp_class_f32 s[54:55], v[vgprValuC+18], v16     // check NaN and +/-INF
v_med3_f32 v12, v[vgprValuC+18], v14, v15          // Clipping f32 value if exceeds the limit
v_cndmask_b32 v12, v12, v[vgprValuC+18], s[54:55]  // 
v_cvt_pk_fp8_f32  v18, v12, v12                    // convert f32 accumulated values to fp8
ds_write_b8 v7, v18, offset:128                    // storeRemap lw
v_cvt_f32_fp8 v12, v20 src0_sel:BYTE_0   // convert fp8 in lo_byte[0] to f32
_v_mac_f32 v[vgprValuC+21], v12, s[sgprBeta]       // finalSum = sum*alpha + C*beta
v_cmp_class_f32 s[54:55], v[vgprValuC+21], v16     // check NaN and +/-INF
v_med3_f32 v12, v[vgprValuC+21], v14, v15          // Clipping f32 value if exceeds the limit
v_cndmask_b32 v12, v12, v[vgprValuC+21], s[54:55]  // 
v_cvt_pk_fp8_f32  v21, v12, v12                    // convert f32 accumulated values to fp8
ds_write_b8 v7, v21, offset:129                    // storeRemap lw
v_cvt_f32_fp8 v12, v23 src0_sel:BYTE_0   // convert fp8 in lo_byte[0] to f32
_v_mac_f32 v[vgprValuC+24], v12, s[sgprBeta]       // finalSum = sum*alpha + C*beta
v_cmp_class_f32 s[54:55], v[vgprValuC+24], v16     // check NaN and +/-INF
v_med3_f32 v12, v[vgprValuC+24], v14, v15          // Clipping f32 value if exceeds the limit
v_cndmask_b32 v12, v12, v[vgprValuC+24], s[54:55]  // 
v_cvt_pk_fp8_f32  v24, v12, v12                    // convert f32 accumulated values to fp8
ds_write_b8 v7, v24, offset:130                    // storeRemap lw
v_cvt_f32_fp8 v12, v26 src0_sel:BYTE_0   // convert fp8 in lo_byte[0] to f32
_v_mac_f32 v[vgprValuC+27], v12, s[sgprBeta]       // finalSum = sum*alpha + C*beta
v_cmp_class_f32 s[54:55], v[vgprValuC+27], v16     // check NaN and +/-INF
v_med3_f32 v12, v[vgprValuC+27], v14, v15          // Clipping f32 value if exceeds the limit
v_cndmask_b32 v12, v12, v[vgprValuC+27], s[54:55]  // 
v_cvt_pk_fp8_f32  v27, v12, v12                    // convert f32 accumulated values to fp8
ds_write_b8 v7, v27, offset:131                    // storeRemap lw
v_cvt_f32_fp8 v12, v29 src0_sel:BYTE_0   // convert fp8 in lo_byte[0] to f32
_v_mac_f32 v[vgprValuC+30], v12, s[sgprBeta]       // finalSum = sum*alpha + C*beta
v_cmp_class_f32 s[54:55], v[vgprValuC+30], v16     // check NaN and +/-INF
v_med3_f32 v12, v[vgprValuC+30], v14, v15          // Clipping f32 value if exceeds the limit
v_cndmask_b32 v12, v12, v[vgprValuC+30], s[54:55]  // 
v_cvt_pk_fp8_f32  v30, v12, v12                    // convert f32 accumulated values to fp8
ds_write_b8 v7, v30, offset:136                    // storeRemap lw
v_cvt_f32_fp8 v12, v32 src0_sel:BYTE_0   // convert fp8 in lo_byte[0] to f32
_v_mac_f32 v[vgprValuC+33], v12, s[sgprBeta]       // finalSum = sum*alpha + C*beta
v_cmp_class_f32 s[54:55], v[vgprValuC+33], v16     // check NaN and +/-INF
v_med3_f32 v12, v[vgprValuC+33], v14, v15          // Clipping f32 value if exceeds the limit
v_cndmask_b32 v12, v12, v[vgprValuC+33], s[54:55]  // 
v_cvt_pk_fp8_f32  v33, v12, v12                    // convert f32 accumulated values to fp8
ds_write_b8 v7, v33, offset:137                    // storeRemap lw
v_cvt_f32_fp8 v12, v35 src0_sel:BYTE_0   // convert fp8 in lo_byte[0] to f32
_v_mac_f32 v[vgprValuC+36], v12, s[sgprBeta]       // finalSum = sum*alpha + C*beta
v_cmp_class_f32 s[54:55], v[vgprValuC+36], v16     // check NaN and +/-INF
v_med3_f32 v12, v[vgprValuC+36], v14, v15          // Clipping f32 value if exceeds the limit
v_cndmask_b32 v12, v12, v[vgprValuC+36], s[54:55]  // 
v_cvt_pk_fp8_f32  v36, v12, v12                    // convert f32 accumulated values to fp8
ds_write_b8 v7, v36, offset:138                    // storeRemap lw
v_cvt_f32_fp8 v12, v38 src0_sel:BYTE_0   // convert fp8 in lo_byte[0] to f32
_v_mac_f32 v[vgprValuC+39], v12, s[sgprBeta]       // finalSum = sum*alpha + C*beta
v_cmp_class_f32 s[54:55], v[vgprValuC+39], v16     // check NaN and +/-INF
v_med3_f32 v12, v[vgprValuC+39], v14, v15          // Clipping f32 value if exceeds the limit
v_cndmask_b32 v12, v12, v[vgprValuC+39], s[54:55]  // 
v_cvt_pk_fp8_f32  v39, v12, v12                    // convert f32 accumulated values to fp8
ds_write_b8 v7, v39, offset:139                    // storeRemap lw
s_nop 0                                            // 1 wait state required when next inst writes vgprs held by previous dwordx4 store inst
/* optSingleColVgpr=0 optSharedColVgpr=0 optSGPRUsage=BufferLoad_Edge_Mask optSrdIncForRow=1 */

/******************************************/
/* Global Write Alpha Beta Edge Batch #11 (d1,d0,vc1,vc0) = */
/*    (2,6,0,0:vw1); (2,6,0,1:vw1); (2,6,0,2:vw1); (2,6,0,3:vw1); (2,7,0,0:vw1); (2,7,0,1:vw1); (2,7,0,2:vw1); (2,7,0,3:vw1) */
/******************************************/

/* calc coords, apply mask, and issue loads (if necessary) */
/* (d1,vc1,d0,vc0)=(2,0,6,0) */
s_mov_b32 s54, 144                                 // coordOffset0 d0=6 vc0=0
_v_add_co_u32 v10, vcc, v0, s54                    // coord0.2: coord0 += d0*sg0*VW + vc0
v_cmp_lt_u32 s[54:55], v10, s[sgprSizeI]           // coord0 < size0
v_cmp_lt_u32 s[58:59], v1, s[sgprSizeJ]            // coord1 < size1
s_and_b64 s[58:59], s[54:55], s[58:59]             // in0 && in1
_v_add_lshl_u32 v9, v2, v10, 0x0                   // scaleToBpe: accumulate d0 lower and *= bpe into Cin addr
v_cndmask_b32 v9, -1, v9, s[58:59]                 // LDC clip if OOB. offset
buffer_load_ubyte v17, v9, s[sgprSrdC:sgprSrdC+3], 0, offen offset:0 // load C for beta calc
_v_add_lshl_u32 v9, v3, v10, 0x0                   // scaleToBpe: accumulate d0 lower and *= bpe into Cin addr
v_cndmask_b32 v9, -1, v9, s[58:59]                 // LDD clip if OOB. offset
/* (d1,vc1,d0,vc0)=(2,0,6,1) */
s_mov_b32 s54, 145                                 // coordOffset0 d0=6 vc0=1
_v_add_co_u32 v10, vcc, v0, s54                    // coord0.2: coord0 += d0*sg0*VW + vc0
v_cmp_lt_u32 s[54:55], v10, s[sgprSizeI]           // coord0 < size0
v_cmp_lt_u32 s[58:59], v1, s[sgprSizeJ]            // coord1 < size1
s_and_b64 s[58:59], s[54:55], s[58:59]             // in0 && in1
_v_add_lshl_u32 v19, v2, v10, 0x0                  // scaleToBpe: accumulate d0 lower and *= bpe into Cin addr
v_cndmask_b32 v19, -1, v19, s[58:59]               // LDC clip if OOB. offset
buffer_load_ubyte v20, v19, s[sgprSrdC:sgprSrdC+3], 0, offen offset:0 // load C for beta calc
_v_add_lshl_u32 v19, v3, v10, 0x0                  // scaleToBpe: accumulate d0 lower and *= bpe into Cin addr
v_cndmask_b32 v19, -1, v19, s[58:59]               // LDD clip if OOB. offset
/* (d1,vc1,d0,vc0)=(2,0,6,2) */
s_mov_b32 s54, 146                                 // coordOffset0 d0=6 vc0=2
_v_add_co_u32 v10, vcc, v0, s54                    // coord0.2: coord0 += d0*sg0*VW + vc0
v_cmp_lt_u32 s[54:55], v10, s[sgprSizeI]           // coord0 < size0
v_cmp_lt_u32 s[58:59], v1, s[sgprSizeJ]            // coord1 < size1
s_and_b64 s[58:59], s[54:55], s[58:59]             // in0 && in1
_v_add_lshl_u32 v22, v2, v10, 0x0                  // scaleToBpe: accumulate d0 lower and *= bpe into Cin addr
v_cndmask_b32 v22, -1, v22, s[58:59]               // LDC clip if OOB. offset
buffer_load_ubyte v23, v22, s[sgprSrdC:sgprSrdC+3], 0, offen offset:0 // load C for beta calc
_v_add_lshl_u32 v22, v3, v10, 0x0                  // scaleToBpe: accumulate d0 lower and *= bpe into Cin addr
v_cndmask_b32 v22, -1, v22, s[58:59]               // LDD clip if OOB. offset
	;; [unrolled: 11-line block ×7, first 2 shown]
v_accvgpr_read_b32 v[vgprValuC+18], acc88 // copy acc to vreg[88]
v_accvgpr_read_b32 v[vgprValuC+21], acc89 // copy acc to vreg[89]
v_accvgpr_read_b32 v[vgprValuC+24], acc90 // copy acc to vreg[90]
v_accvgpr_read_b32 v[vgprValuC+27], acc91 // copy acc to vreg[91]
v_accvgpr_read_b32 v[vgprValuC+30], acc92 // copy acc to vreg[92]
v_accvgpr_read_b32 v[vgprValuC+33], acc93 // copy acc to vreg[93]
v_accvgpr_read_b32 v[vgprValuC+36], acc94 // copy acc to vreg[94]
v_accvgpr_read_b32 v[vgprValuC+39], acc95 // copy acc to vreg[95]
s_nop 1                                            // 2 wait states required before reading vgpr

/* rC *= alpha batchElements=[(2, 6, 0, 0), (2, 6, 0, 1), (2, 6, 0, 2), (2, 6, 0, 3), (2, 7, 0, 0), (2, 7, 0, 1), (2, 7, 0, 2), (2, 7, 0, 3)] */
v_mul_f32 v[vgprValuC+18], s[sgprAlpha], v[vgprValuC+18] // *= alpha
v_mul_f32 v[vgprValuC+21], s[sgprAlpha], v[vgprValuC+21] // *= alpha
v_mul_f32 v[vgprValuC+24], s[sgprAlpha], v[vgprValuC+24] // *= alpha
v_mul_f32 v[vgprValuC+27], s[sgprAlpha], v[vgprValuC+27] // *= alpha
v_mul_f32 v[vgprValuC+30], s[sgprAlpha], v[vgprValuC+30] // *= alpha
v_mul_f32 v[vgprValuC+33], s[sgprAlpha], v[vgprValuC+33] // *= alpha
v_mul_f32 v[vgprValuC+36], s[sgprAlpha], v[vgprValuC+36] // *= alpha
v_mul_f32 v[vgprValuC+39], s[sgprAlpha], v[vgprValuC+39] // *= alpha
s_waitcnt vmcnt(0)                                 // wait C

/* apply mask, calc new C and issue writes */
v_mov_b32 v16, 0x207                               // flag for Nan and +/- inf
v_mov_b32 v14, 0x43700000                          // save 240.0f as max for clipping
v_mov_b32 v15, 0xC3700000                          // save -240.0f as min for clipping
v_cvt_f32_fp8 v12, v17 src0_sel:BYTE_0   // convert fp8 in lo_byte[0] to f32
_v_mac_f32 v[vgprValuC+18], v12, s[sgprBeta]       // finalSum = sum*alpha + C*beta
v_cmp_class_f32 s[54:55], v[vgprValuC+18], v16     // check NaN and +/-INF
v_med3_f32 v12, v[vgprValuC+18], v14, v15          // Clipping f32 value if exceeds the limit
v_cndmask_b32 v12, v12, v[vgprValuC+18], s[54:55]  // 
v_cvt_pk_fp8_f32  v18, v12, v12                    // convert f32 accumulated values to fp8
ds_write_b8 v7, v18, offset:144                    // storeRemap lw
v_cvt_f32_fp8 v12, v20 src0_sel:BYTE_0   // convert fp8 in lo_byte[0] to f32
_v_mac_f32 v[vgprValuC+21], v12, s[sgprBeta]       // finalSum = sum*alpha + C*beta
v_cmp_class_f32 s[54:55], v[vgprValuC+21], v16     // check NaN and +/-INF
v_med3_f32 v12, v[vgprValuC+21], v14, v15          // Clipping f32 value if exceeds the limit
v_cndmask_b32 v12, v12, v[vgprValuC+21], s[54:55]  // 
v_cvt_pk_fp8_f32  v21, v12, v12                    // convert f32 accumulated values to fp8
ds_write_b8 v7, v21, offset:145                    // storeRemap lw
	;; [unrolled: 7-line block ×8, first 2 shown]

/* Handle local read and global write */
s_waitcnt lgkmcnt(0)                               // wait for LDS write
s_barrier //wait all lds write finished

_ds_load_b128 v[20:23], v8, offset:0               // storeRemap lr
_ds_load_b128 v[24:27], v8, offset:1088            // storeRemap lr

s_waitcnt lgkmcnt(1)                               // wait for LDS read
_v_add_u32 v11, v5, 0                              // coord1 += nColPerLoad
_v_add_u32 v10, v4, 0                              // coord0 += element index of load vector
_v_add_u32 v9, v6, 0                               // offset coord1 += nColPerLoad
v_cmp_lt_u32 s[54:55], v10, s[sgprSizeI]           // coord0 < size0
v_cmp_lt_u32 s[56:57], v11, s[sgprSizeJ]           // coord1 < size1
s_and_b64 s[56:57], s[54:55], s[56:57]             // in0 && in1
v_mul_lo_u32 v9, v9, s[sgprStrideD1J]              // coord1 element offset =  coord1 * StrideD
_v_add_lshl_u32 v9, v9, v10, 0x0                   // scale to BPE
v_cndmask_b32 v9, -1, v9, s[56:57]                 // clip if OOB. offset
buffer_store_byte v20, v9, s[sgprSrdD:sgprSrdD+3], 0, offen, offset:0 // store D
_v_add_u32 v11, v5, 0                              // coord1 += nColPerLoad
_v_add_u32 v10, v4, 1                              // coord0 += element index of load vector
_v_add_u32 v9, v6, 0                               // offset coord1 += nColPerLoad
v_cmp_lt_u32 s[54:55], v10, s[sgprSizeI]           // coord0 < size0
v_cmp_lt_u32 s[56:57], v11, s[sgprSizeJ]           // coord1 < size1
s_and_b64 s[56:57], s[54:55], s[56:57]             // in0 && in1
v_mul_lo_u32 v9, v9, s[sgprStrideD1J]              // coord1 element offset =  coord1 * StrideD
_v_add_lshl_u32 v9, v9, v10, 0x0                   // scale to BPE
v_cndmask_b32 v9, -1, v9, s[56:57]                 // clip if OOB. offset
v_lshrrev_b32 v17, 8, v20                          // vGWTmp = src >> 8
buffer_store_byte v17, v9, s[sgprSrdD:sgprSrdD+3], 0, offen, offset:0 // store D
_v_add_u32 v11, v5, 0                              // coord1 += nColPerLoad
_v_add_u32 v10, v4, 2                              // coord0 += element index of load vector
_v_add_u32 v9, v6, 0                               // offset coord1 += nColPerLoad
v_cmp_lt_u32 s[54:55], v10, s[sgprSizeI]           // coord0 < size0
v_cmp_lt_u32 s[56:57], v11, s[sgprSizeJ]           // coord1 < size1
s_and_b64 s[56:57], s[54:55], s[56:57]             // in0 && in1
v_mul_lo_u32 v9, v9, s[sgprStrideD1J]              // coord1 element offset =  coord1 * StrideD
_v_add_lshl_u32 v9, v9, v10, 0x0                   // scale to BPE
v_cndmask_b32 v9, -1, v9, s[56:57]                 // clip if OOB. offset
buffer_store_byte_d16_hi v20, v9, s[sgprSrdD:sgprSrdD+3], 0, offen, offset:0 // store D
_v_add_u32 v11, v5, 0                              // coord1 += nColPerLoad
_v_add_u32 v10, v4, 3                              // coord0 += element index of load vector
_v_add_u32 v9, v6, 0                               // offset coord1 += nColPerLoad
v_cmp_lt_u32 s[54:55], v10, s[sgprSizeI]           // coord0 < size0
v_cmp_lt_u32 s[56:57], v11, s[sgprSizeJ]           // coord1 < size1
s_and_b64 s[56:57], s[54:55], s[56:57]             // in0 && in1
v_mul_lo_u32 v9, v9, s[sgprStrideD1J]              // coord1 element offset =  coord1 * StrideD
_v_add_lshl_u32 v9, v9, v10, 0x0                   // scale to BPE
v_cndmask_b32 v9, -1, v9, s[56:57]                 // clip if OOB. offset
v_lshrrev_b32 v17, 8, v20                          // vGWTmp = src >> 8
buffer_store_byte_d16_hi v17, v9, s[sgprSrdD:sgprSrdD+3], 0, offen, offset:0 // store D
_v_add_u32 v11, v5, 0                              // coord1 += nColPerLoad
_v_add_u32 v10, v4, 4                              // coord0 += element index of load vector
_v_add_u32 v9, v6, 0                               // offset coord1 += nColPerLoad
v_cmp_lt_u32 s[54:55], v10, s[sgprSizeI]           // coord0 < size0
v_cmp_lt_u32 s[56:57], v11, s[sgprSizeJ]           // coord1 < size1
s_and_b64 s[56:57], s[54:55], s[56:57]             // in0 && in1
v_mul_lo_u32 v9, v9, s[sgprStrideD1J]              // coord1 element offset =  coord1 * StrideD
_v_add_lshl_u32 v9, v9, v10, 0x0                   // scale to BPE
v_cndmask_b32 v9, -1, v9, s[56:57]                 // clip if OOB. offset
buffer_store_byte v21, v9, s[sgprSrdD:sgprSrdD+3], 0, offen, offset:0 // store D
_v_add_u32 v11, v5, 0                              // coord1 += nColPerLoad
_v_add_u32 v10, v4, 5                              // coord0 += element index of load vector
_v_add_u32 v9, v6, 0                               // offset coord1 += nColPerLoad
v_cmp_lt_u32 s[54:55], v10, s[sgprSizeI]           // coord0 < size0
v_cmp_lt_u32 s[56:57], v11, s[sgprSizeJ]           // coord1 < size1
s_and_b64 s[56:57], s[54:55], s[56:57]             // in0 && in1
v_mul_lo_u32 v9, v9, s[sgprStrideD1J]              // coord1 element offset =  coord1 * StrideD
_v_add_lshl_u32 v9, v9, v10, 0x0                   // scale to BPE
v_cndmask_b32 v9, -1, v9, s[56:57]                 // clip if OOB. offset
v_lshrrev_b32 v17, 8, v21                          // vGWTmp = src >> 8
buffer_store_byte v17, v9, s[sgprSrdD:sgprSrdD+3], 0, offen, offset:0 // store D
_v_add_u32 v11, v5, 0                              // coord1 += nColPerLoad
_v_add_u32 v10, v4, 6                              // coord0 += element index of load vector
_v_add_u32 v9, v6, 0                               // offset coord1 += nColPerLoad
v_cmp_lt_u32 s[54:55], v10, s[sgprSizeI]           // coord0 < size0
v_cmp_lt_u32 s[56:57], v11, s[sgprSizeJ]           // coord1 < size1
s_and_b64 s[56:57], s[54:55], s[56:57]             // in0 && in1
v_mul_lo_u32 v9, v9, s[sgprStrideD1J]              // coord1 element offset =  coord1 * StrideD
_v_add_lshl_u32 v9, v9, v10, 0x0                   // scale to BPE
v_cndmask_b32 v9, -1, v9, s[56:57]                 // clip if OOB. offset
buffer_store_byte_d16_hi v21, v9, s[sgprSrdD:sgprSrdD+3], 0, offen, offset:0 // store D
_v_add_u32 v11, v5, 0                              // coord1 += nColPerLoad
_v_add_u32 v10, v4, 7                              // coord0 += element index of load vector
_v_add_u32 v9, v6, 0                               // offset coord1 += nColPerLoad
v_cmp_lt_u32 s[54:55], v10, s[sgprSizeI]           // coord0 < size0
v_cmp_lt_u32 s[56:57], v11, s[sgprSizeJ]           // coord1 < size1
s_and_b64 s[56:57], s[54:55], s[56:57]             // in0 && in1
v_mul_lo_u32 v9, v9, s[sgprStrideD1J]              // coord1 element offset =  coord1 * StrideD
_v_add_lshl_u32 v9, v9, v10, 0x0                   // scale to BPE
v_cndmask_b32 v9, -1, v9, s[56:57]                 // clip if OOB. offset
v_lshrrev_b32 v17, 8, v21                          // vGWTmp = src >> 8
buffer_store_byte_d16_hi v17, v9, s[sgprSrdD:sgprSrdD+3], 0, offen, offset:0 // store D
_v_add_u32 v11, v5, 0                              // coord1 += nColPerLoad
_v_add_u32 v10, v4, 8                              // coord0 += element index of load vector
_v_add_u32 v9, v6, 0                               // offset coord1 += nColPerLoad
v_cmp_lt_u32 s[54:55], v10, s[sgprSizeI]           // coord0 < size0
v_cmp_lt_u32 s[56:57], v11, s[sgprSizeJ]           // coord1 < size1
s_and_b64 s[56:57], s[54:55], s[56:57]             // in0 && in1
v_mul_lo_u32 v9, v9, s[sgprStrideD1J]              // coord1 element offset =  coord1 * StrideD
_v_add_lshl_u32 v9, v9, v10, 0x0                   // scale to BPE
v_cndmask_b32 v9, -1, v9, s[56:57]                 // clip if OOB. offset
buffer_store_byte v22, v9, s[sgprSrdD:sgprSrdD+3], 0, offen, offset:0 // store D
_v_add_u32 v11, v5, 0                              // coord1 += nColPerLoad
_v_add_u32 v10, v4, 9                              // coord0 += element index of load vector
_v_add_u32 v9, v6, 0                               // offset coord1 += nColPerLoad
v_cmp_lt_u32 s[54:55], v10, s[sgprSizeI]           // coord0 < size0
v_cmp_lt_u32 s[56:57], v11, s[sgprSizeJ]           // coord1 < size1
s_and_b64 s[56:57], s[54:55], s[56:57]             // in0 && in1
v_mul_lo_u32 v9, v9, s[sgprStrideD1J]              // coord1 element offset =  coord1 * StrideD
_v_add_lshl_u32 v9, v9, v10, 0x0                   // scale to BPE
v_cndmask_b32 v9, -1, v9, s[56:57]                 // clip if OOB. offset
v_lshrrev_b32 v17, 8, v22                          // vGWTmp = src >> 8
buffer_store_byte v17, v9, s[sgprSrdD:sgprSrdD+3], 0, offen, offset:0 // store D
_v_add_u32 v11, v5, 0                              // coord1 += nColPerLoad
_v_add_u32 v10, v4, 10                             // coord0 += element index of load vector
_v_add_u32 v9, v6, 0                               // offset coord1 += nColPerLoad
v_cmp_lt_u32 s[54:55], v10, s[sgprSizeI]           // coord0 < size0
v_cmp_lt_u32 s[56:57], v11, s[sgprSizeJ]           // coord1 < size1
s_and_b64 s[56:57], s[54:55], s[56:57]             // in0 && in1
v_mul_lo_u32 v9, v9, s[sgprStrideD1J]              // coord1 element offset =  coord1 * StrideD
_v_add_lshl_u32 v9, v9, v10, 0x0                   // scale to BPE
v_cndmask_b32 v9, -1, v9, s[56:57]                 // clip if OOB. offset
buffer_store_byte_d16_hi v22, v9, s[sgprSrdD:sgprSrdD+3], 0, offen, offset:0 // store D
_v_add_u32 v11, v5, 0                              // coord1 += nColPerLoad
_v_add_u32 v10, v4, 11                             // coord0 += element index of load vector
_v_add_u32 v9, v6, 0                               // offset coord1 += nColPerLoad
v_cmp_lt_u32 s[54:55], v10, s[sgprSizeI]           // coord0 < size0
v_cmp_lt_u32 s[56:57], v11, s[sgprSizeJ]           // coord1 < size1
s_and_b64 s[56:57], s[54:55], s[56:57]             // in0 && in1
v_mul_lo_u32 v9, v9, s[sgprStrideD1J]              // coord1 element offset =  coord1 * StrideD
_v_add_lshl_u32 v9, v9, v10, 0x0                   // scale to BPE
v_cndmask_b32 v9, -1, v9, s[56:57]                 // clip if OOB. offset
v_lshrrev_b32 v17, 8, v22                          // vGWTmp = src >> 8
buffer_store_byte_d16_hi v17, v9, s[sgprSrdD:sgprSrdD+3], 0, offen, offset:0 // store D
_v_add_u32 v11, v5, 0                              // coord1 += nColPerLoad
_v_add_u32 v10, v4, 12                             // coord0 += element index of load vector
_v_add_u32 v9, v6, 0                               // offset coord1 += nColPerLoad
v_cmp_lt_u32 s[54:55], v10, s[sgprSizeI]           // coord0 < size0
v_cmp_lt_u32 s[56:57], v11, s[sgprSizeJ]           // coord1 < size1
s_and_b64 s[56:57], s[54:55], s[56:57]             // in0 && in1
v_mul_lo_u32 v9, v9, s[sgprStrideD1J]              // coord1 element offset =  coord1 * StrideD
_v_add_lshl_u32 v9, v9, v10, 0x0                   // scale to BPE
v_cndmask_b32 v9, -1, v9, s[56:57]                 // clip if OOB. offset
buffer_store_byte v23, v9, s[sgprSrdD:sgprSrdD+3], 0, offen, offset:0 // store D
_v_add_u32 v11, v5, 0                              // coord1 += nColPerLoad
_v_add_u32 v10, v4, 13                             // coord0 += element index of load vector
_v_add_u32 v9, v6, 0                               // offset coord1 += nColPerLoad
v_cmp_lt_u32 s[54:55], v10, s[sgprSizeI]           // coord0 < size0
v_cmp_lt_u32 s[56:57], v11, s[sgprSizeJ]           // coord1 < size1
s_and_b64 s[56:57], s[54:55], s[56:57]             // in0 && in1
v_mul_lo_u32 v9, v9, s[sgprStrideD1J]              // coord1 element offset =  coord1 * StrideD
_v_add_lshl_u32 v9, v9, v10, 0x0                   // scale to BPE
v_cndmask_b32 v9, -1, v9, s[56:57]                 // clip if OOB. offset
v_lshrrev_b32 v17, 8, v23                          // vGWTmp = src >> 8
buffer_store_byte v17, v9, s[sgprSrdD:sgprSrdD+3], 0, offen, offset:0 // store D
_v_add_u32 v11, v5, 0                              // coord1 += nColPerLoad
_v_add_u32 v10, v4, 14                             // coord0 += element index of load vector
_v_add_u32 v9, v6, 0                               // offset coord1 += nColPerLoad
v_cmp_lt_u32 s[54:55], v10, s[sgprSizeI]           // coord0 < size0
v_cmp_lt_u32 s[56:57], v11, s[sgprSizeJ]           // coord1 < size1
s_and_b64 s[56:57], s[54:55], s[56:57]             // in0 && in1
v_mul_lo_u32 v9, v9, s[sgprStrideD1J]              // coord1 element offset =  coord1 * StrideD
_v_add_lshl_u32 v9, v9, v10, 0x0                   // scale to BPE
v_cndmask_b32 v9, -1, v9, s[56:57]                 // clip if OOB. offset
buffer_store_byte_d16_hi v23, v9, s[sgprSrdD:sgprSrdD+3], 0, offen, offset:0 // store D
_v_add_u32 v11, v5, 0                              // coord1 += nColPerLoad
_v_add_u32 v10, v4, 15                             // coord0 += element index of load vector
_v_add_u32 v9, v6, 0                               // offset coord1 += nColPerLoad
v_cmp_lt_u32 s[54:55], v10, s[sgprSizeI]           // coord0 < size0
v_cmp_lt_u32 s[56:57], v11, s[sgprSizeJ]           // coord1 < size1
s_and_b64 s[56:57], s[54:55], s[56:57]             // in0 && in1
v_mul_lo_u32 v9, v9, s[sgprStrideD1J]              // coord1 element offset =  coord1 * StrideD
_v_add_lshl_u32 v9, v9, v10, 0x0                   // scale to BPE
v_cndmask_b32 v9, -1, v9, s[56:57]                 // clip if OOB. offset
v_lshrrev_b32 v17, 8, v23                          // vGWTmp = src >> 8
buffer_store_byte_d16_hi v17, v9, s[sgprSrdD:sgprSrdD+3], 0, offen, offset:0 // store D
s_waitcnt lgkmcnt(0)                               // wait for LDS read
_v_add_u32 v11, v5, 4                              // coord1 += nColPerLoad
_v_add_u32 v10, v4, 0                              // coord0 += element index of load vector
_v_add_u32 v9, v6, 4                               // offset coord1 += nColPerLoad
v_cmp_lt_u32 s[54:55], v10, s[sgprSizeI]           // coord0 < size0
v_cmp_lt_u32 s[56:57], v11, s[sgprSizeJ]           // coord1 < size1
s_and_b64 s[56:57], s[54:55], s[56:57]             // in0 && in1
v_mul_lo_u32 v9, v9, s[sgprStrideD1J]              // coord1 element offset =  coord1 * StrideD
_v_add_lshl_u32 v9, v9, v10, 0x0                   // scale to BPE
v_cndmask_b32 v9, -1, v9, s[56:57]                 // clip if OOB. offset
buffer_store_byte v24, v9, s[sgprSrdD:sgprSrdD+3], 0, offen, offset:0 // store D
_v_add_u32 v11, v5, 4                              // coord1 += nColPerLoad
_v_add_u32 v10, v4, 1                              // coord0 += element index of load vector
_v_add_u32 v9, v6, 4                               // offset coord1 += nColPerLoad
v_cmp_lt_u32 s[54:55], v10, s[sgprSizeI]           // coord0 < size0
v_cmp_lt_u32 s[56:57], v11, s[sgprSizeJ]           // coord1 < size1
s_and_b64 s[56:57], s[54:55], s[56:57]             // in0 && in1
v_mul_lo_u32 v9, v9, s[sgprStrideD1J]              // coord1 element offset =  coord1 * StrideD
_v_add_lshl_u32 v9, v9, v10, 0x0                   // scale to BPE
v_cndmask_b32 v9, -1, v9, s[56:57]                 // clip if OOB. offset
v_lshrrev_b32 v17, 8, v24                          // vGWTmp = src >> 8
buffer_store_byte v17, v9, s[sgprSrdD:sgprSrdD+3], 0, offen, offset:0 // store D
_v_add_u32 v11, v5, 4                              // coord1 += nColPerLoad
_v_add_u32 v10, v4, 2                              // coord0 += element index of load vector
_v_add_u32 v9, v6, 4                               // offset coord1 += nColPerLoad
v_cmp_lt_u32 s[54:55], v10, s[sgprSizeI]           // coord0 < size0
v_cmp_lt_u32 s[56:57], v11, s[sgprSizeJ]           // coord1 < size1
s_and_b64 s[56:57], s[54:55], s[56:57]             // in0 && in1
v_mul_lo_u32 v9, v9, s[sgprStrideD1J]              // coord1 element offset =  coord1 * StrideD
_v_add_lshl_u32 v9, v9, v10, 0x0                   // scale to BPE
v_cndmask_b32 v9, -1, v9, s[56:57]                 // clip if OOB. offset
buffer_store_byte_d16_hi v24, v9, s[sgprSrdD:sgprSrdD+3], 0, offen, offset:0 // store D
_v_add_u32 v11, v5, 4                              // coord1 += nColPerLoad
_v_add_u32 v10, v4, 3                              // coord0 += element index of load vector
_v_add_u32 v9, v6, 4                               // offset coord1 += nColPerLoad
v_cmp_lt_u32 s[54:55], v10, s[sgprSizeI]           // coord0 < size0
v_cmp_lt_u32 s[56:57], v11, s[sgprSizeJ]           // coord1 < size1
s_and_b64 s[56:57], s[54:55], s[56:57]             // in0 && in1
v_mul_lo_u32 v9, v9, s[sgprStrideD1J]              // coord1 element offset =  coord1 * StrideD
_v_add_lshl_u32 v9, v9, v10, 0x0                   // scale to BPE
v_cndmask_b32 v9, -1, v9, s[56:57]                 // clip if OOB. offset
v_lshrrev_b32 v17, 8, v24                          // vGWTmp = src >> 8
buffer_store_byte_d16_hi v17, v9, s[sgprSrdD:sgprSrdD+3], 0, offen, offset:0 // store D
_v_add_u32 v11, v5, 4                              // coord1 += nColPerLoad
_v_add_u32 v10, v4, 4                              // coord0 += element index of load vector
_v_add_u32 v9, v6, 4                               // offset coord1 += nColPerLoad
v_cmp_lt_u32 s[54:55], v10, s[sgprSizeI]           // coord0 < size0
v_cmp_lt_u32 s[56:57], v11, s[sgprSizeJ]           // coord1 < size1
s_and_b64 s[56:57], s[54:55], s[56:57]             // in0 && in1
v_mul_lo_u32 v9, v9, s[sgprStrideD1J]              // coord1 element offset =  coord1 * StrideD
_v_add_lshl_u32 v9, v9, v10, 0x0                   // scale to BPE
v_cndmask_b32 v9, -1, v9, s[56:57]                 // clip if OOB. offset
buffer_store_byte v25, v9, s[sgprSrdD:sgprSrdD+3], 0, offen, offset:0 // store D
_v_add_u32 v11, v5, 4                              // coord1 += nColPerLoad
_v_add_u32 v10, v4, 5                              // coord0 += element index of load vector
_v_add_u32 v9, v6, 4                               // offset coord1 += nColPerLoad
v_cmp_lt_u32 s[54:55], v10, s[sgprSizeI]           // coord0 < size0
v_cmp_lt_u32 s[56:57], v11, s[sgprSizeJ]           // coord1 < size1
s_and_b64 s[56:57], s[54:55], s[56:57]             // in0 && in1
v_mul_lo_u32 v9, v9, s[sgprStrideD1J]              // coord1 element offset =  coord1 * StrideD
_v_add_lshl_u32 v9, v9, v10, 0x0                   // scale to BPE
v_cndmask_b32 v9, -1, v9, s[56:57]                 // clip if OOB. offset
v_lshrrev_b32 v17, 8, v25                          // vGWTmp = src >> 8
buffer_store_byte v17, v9, s[sgprSrdD:sgprSrdD+3], 0, offen, offset:0 // store D
_v_add_u32 v11, v5, 4                              // coord1 += nColPerLoad
_v_add_u32 v10, v4, 6                              // coord0 += element index of load vector
_v_add_u32 v9, v6, 4                               // offset coord1 += nColPerLoad
v_cmp_lt_u32 s[54:55], v10, s[sgprSizeI]           // coord0 < size0
v_cmp_lt_u32 s[56:57], v11, s[sgprSizeJ]           // coord1 < size1
s_and_b64 s[56:57], s[54:55], s[56:57]             // in0 && in1
v_mul_lo_u32 v9, v9, s[sgprStrideD1J]              // coord1 element offset =  coord1 * StrideD
_v_add_lshl_u32 v9, v9, v10, 0x0                   // scale to BPE
v_cndmask_b32 v9, -1, v9, s[56:57]                 // clip if OOB. offset
buffer_store_byte_d16_hi v25, v9, s[sgprSrdD:sgprSrdD+3], 0, offen, offset:0 // store D
_v_add_u32 v11, v5, 4                              // coord1 += nColPerLoad
_v_add_u32 v10, v4, 7                              // coord0 += element index of load vector
_v_add_u32 v9, v6, 4                               // offset coord1 += nColPerLoad
v_cmp_lt_u32 s[54:55], v10, s[sgprSizeI]           // coord0 < size0
v_cmp_lt_u32 s[56:57], v11, s[sgprSizeJ]           // coord1 < size1
s_and_b64 s[56:57], s[54:55], s[56:57]             // in0 && in1
v_mul_lo_u32 v9, v9, s[sgprStrideD1J]              // coord1 element offset =  coord1 * StrideD
_v_add_lshl_u32 v9, v9, v10, 0x0                   // scale to BPE
v_cndmask_b32 v9, -1, v9, s[56:57]                 // clip if OOB. offset
v_lshrrev_b32 v17, 8, v25                          // vGWTmp = src >> 8
buffer_store_byte_d16_hi v17, v9, s[sgprSrdD:sgprSrdD+3], 0, offen, offset:0 // store D
_v_add_u32 v11, v5, 4                              // coord1 += nColPerLoad
_v_add_u32 v10, v4, 8                              // coord0 += element index of load vector
_v_add_u32 v9, v6, 4                               // offset coord1 += nColPerLoad
v_cmp_lt_u32 s[54:55], v10, s[sgprSizeI]           // coord0 < size0
v_cmp_lt_u32 s[56:57], v11, s[sgprSizeJ]           // coord1 < size1
s_and_b64 s[56:57], s[54:55], s[56:57]             // in0 && in1
v_mul_lo_u32 v9, v9, s[sgprStrideD1J]              // coord1 element offset =  coord1 * StrideD
_v_add_lshl_u32 v9, v9, v10, 0x0                   // scale to BPE
v_cndmask_b32 v9, -1, v9, s[56:57]                 // clip if OOB. offset
buffer_store_byte v26, v9, s[sgprSrdD:sgprSrdD+3], 0, offen, offset:0 // store D
_v_add_u32 v11, v5, 4                              // coord1 += nColPerLoad
_v_add_u32 v10, v4, 9                              // coord0 += element index of load vector
_v_add_u32 v9, v6, 4                               // offset coord1 += nColPerLoad
v_cmp_lt_u32 s[54:55], v10, s[sgprSizeI]           // coord0 < size0
v_cmp_lt_u32 s[56:57], v11, s[sgprSizeJ]           // coord1 < size1
s_and_b64 s[56:57], s[54:55], s[56:57]             // in0 && in1
v_mul_lo_u32 v9, v9, s[sgprStrideD1J]              // coord1 element offset =  coord1 * StrideD
_v_add_lshl_u32 v9, v9, v10, 0x0                   // scale to BPE
v_cndmask_b32 v9, -1, v9, s[56:57]                 // clip if OOB. offset
v_lshrrev_b32 v17, 8, v26                          // vGWTmp = src >> 8
buffer_store_byte v17, v9, s[sgprSrdD:sgprSrdD+3], 0, offen, offset:0 // store D
_v_add_u32 v11, v5, 4                              // coord1 += nColPerLoad
_v_add_u32 v10, v4, 10                             // coord0 += element index of load vector
_v_add_u32 v9, v6, 4                               // offset coord1 += nColPerLoad
v_cmp_lt_u32 s[54:55], v10, s[sgprSizeI]           // coord0 < size0
v_cmp_lt_u32 s[56:57], v11, s[sgprSizeJ]           // coord1 < size1
s_and_b64 s[56:57], s[54:55], s[56:57]             // in0 && in1
v_mul_lo_u32 v9, v9, s[sgprStrideD1J]              // coord1 element offset =  coord1 * StrideD
_v_add_lshl_u32 v9, v9, v10, 0x0                   // scale to BPE
v_cndmask_b32 v9, -1, v9, s[56:57]                 // clip if OOB. offset
buffer_store_byte_d16_hi v26, v9, s[sgprSrdD:sgprSrdD+3], 0, offen, offset:0 // store D
_v_add_u32 v11, v5, 4                              // coord1 += nColPerLoad
_v_add_u32 v10, v4, 11                             // coord0 += element index of load vector
_v_add_u32 v9, v6, 4                               // offset coord1 += nColPerLoad
v_cmp_lt_u32 s[54:55], v10, s[sgprSizeI]           // coord0 < size0
v_cmp_lt_u32 s[56:57], v11, s[sgprSizeJ]           // coord1 < size1
s_and_b64 s[56:57], s[54:55], s[56:57]             // in0 && in1
v_mul_lo_u32 v9, v9, s[sgprStrideD1J]              // coord1 element offset =  coord1 * StrideD
_v_add_lshl_u32 v9, v9, v10, 0x0                   // scale to BPE
v_cndmask_b32 v9, -1, v9, s[56:57]                 // clip if OOB. offset
v_lshrrev_b32 v17, 8, v26                          // vGWTmp = src >> 8
buffer_store_byte_d16_hi v17, v9, s[sgprSrdD:sgprSrdD+3], 0, offen, offset:0 // store D
_v_add_u32 v11, v5, 4                              // coord1 += nColPerLoad
_v_add_u32 v10, v4, 12                             // coord0 += element index of load vector
_v_add_u32 v9, v6, 4                               // offset coord1 += nColPerLoad
v_cmp_lt_u32 s[54:55], v10, s[sgprSizeI]           // coord0 < size0
v_cmp_lt_u32 s[56:57], v11, s[sgprSizeJ]           // coord1 < size1
s_and_b64 s[56:57], s[54:55], s[56:57]             // in0 && in1
v_mul_lo_u32 v9, v9, s[sgprStrideD1J]              // coord1 element offset =  coord1 * StrideD
_v_add_lshl_u32 v9, v9, v10, 0x0                   // scale to BPE
v_cndmask_b32 v9, -1, v9, s[56:57]                 // clip if OOB. offset
buffer_store_byte v27, v9, s[sgprSrdD:sgprSrdD+3], 0, offen, offset:0 // store D
_v_add_u32 v11, v5, 4                              // coord1 += nColPerLoad
_v_add_u32 v10, v4, 13                             // coord0 += element index of load vector
_v_add_u32 v9, v6, 4                               // offset coord1 += nColPerLoad
v_cmp_lt_u32 s[54:55], v10, s[sgprSizeI]           // coord0 < size0
v_cmp_lt_u32 s[56:57], v11, s[sgprSizeJ]           // coord1 < size1
s_and_b64 s[56:57], s[54:55], s[56:57]             // in0 && in1
v_mul_lo_u32 v9, v9, s[sgprStrideD1J]              // coord1 element offset =  coord1 * StrideD
_v_add_lshl_u32 v9, v9, v10, 0x0                   // scale to BPE
v_cndmask_b32 v9, -1, v9, s[56:57]                 // clip if OOB. offset
v_lshrrev_b32 v17, 8, v27                          // vGWTmp = src >> 8
buffer_store_byte v17, v9, s[sgprSrdD:sgprSrdD+3], 0, offen, offset:0 // store D
_v_add_u32 v11, v5, 4                              // coord1 += nColPerLoad
_v_add_u32 v10, v4, 14                             // coord0 += element index of load vector
_v_add_u32 v9, v6, 4                               // offset coord1 += nColPerLoad
v_cmp_lt_u32 s[54:55], v10, s[sgprSizeI]           // coord0 < size0
v_cmp_lt_u32 s[56:57], v11, s[sgprSizeJ]           // coord1 < size1
s_and_b64 s[56:57], s[54:55], s[56:57]             // in0 && in1
v_mul_lo_u32 v9, v9, s[sgprStrideD1J]              // coord1 element offset =  coord1 * StrideD
_v_add_lshl_u32 v9, v9, v10, 0x0                   // scale to BPE
v_cndmask_b32 v9, -1, v9, s[56:57]                 // clip if OOB. offset
buffer_store_byte_d16_hi v27, v9, s[sgprSrdD:sgprSrdD+3], 0, offen, offset:0 // store D
_v_add_u32 v11, v5, 4                              // coord1 += nColPerLoad
_v_add_u32 v10, v4, 15                             // coord0 += element index of load vector
_v_add_u32 v9, v6, 4                               // offset coord1 += nColPerLoad
v_cmp_lt_u32 s[54:55], v10, s[sgprSizeI]           // coord0 < size0
v_cmp_lt_u32 s[56:57], v11, s[sgprSizeJ]           // coord1 < size1
s_and_b64 s[56:57], s[54:55], s[56:57]             // in0 && in1
v_mul_lo_u32 v9, v9, s[sgprStrideD1J]              // coord1 element offset =  coord1 * StrideD
_v_add_lshl_u32 v9, v9, v10, 0x0                   // scale to BPE
v_cndmask_b32 v9, -1, v9, s[56:57]                 // clip if OOB. offset
v_lshrrev_b32 v17, 8, v27                          // vGWTmp = src >> 8
buffer_store_byte_d16_hi v17, v9, s[sgprSrdD:sgprSrdD+3], 0, offen, offset:0 // store D

s_barrier //wait all lds read finished
s_nop 0                                            // 1 wait state required when next inst writes vgprs held by previous dwordx4 store inst
/* optSingleColVgpr=0 optSharedColVgpr=0 optSGPRUsage=BufferLoad_Edge_Mask optSrdIncForRow=1 */

/******************************************/
/* Global Write Alpha Beta Edge Batch #12 (d1,d0,vc1,vc0) = */
/*    (3,0,0,0:vw1); (3,0,0,1:vw1); (3,0,0,2:vw1); (3,0,0,3:vw1); (3,1,0,0:vw1); (3,1,0,1:vw1); (3,1,0,2:vw1); (3,1,0,3:vw1) */
/******************************************/

/* calc coords, apply mask, and issue loads (if necessary) */
/* (d1,vc1,d0,vc0)=(3,0,0,0) */
_v_add_co_u32 v1, vcc, v1, 32                      // coord1.1: coord1Vgpr += d1*sg1*VW + vc1
v_cmp_lt_u32 s[54:55], v0, s[sgprSizeI]            // coord0 < size0
v_cmp_lt_u32 s[58:59], v1, s[sgprSizeJ]            // coord1 < size1
s_and_b64 s[58:59], s[54:55], s[58:59]             // in0 && in1
_v_add_lshl_u32 v9, v2, v0, 0x0                    // scaleToBpe: accumulate d0 lower and *= bpe into Cin addr
v_cndmask_b32 v9, -1, v9, s[58:59]                 // LDC clip if OOB. offset
s_mul_i32 s54, s[sgprStrideC1J], 32                // scale StrideC *= numRows(32) * bpe
s_add_u32  s[sgprSrdC+0], s[sgprSrdC+0], s54       // incToNextRow: gra SRD += inc(lower)
s_addc_u32  s[sgprSrdC+1], s[sgprSrdC+1], 0        // incToNextRow: gra SRD += inc(upper)
buffer_load_ubyte v17, v9, s[sgprSrdC:sgprSrdC+3], 0, offen offset:0 // load C for beta calc
_v_add_lshl_u32 v9, v3, v0, 0x0                    // scaleToBpe: accumulate d0 lower and *= bpe into Cin addr
v_cndmask_b32 v9, -1, v9, s[58:59]                 // LDD clip if OOB. offset
/* (d1,vc1,d0,vc0)=(3,0,0,1) */
_v_add_co_u32 v10, vcc, v0, 1                      // coord0.1: coord0 += d0*sg0*VW + vc0
v_cmp_lt_u32 s[54:55], v10, s[sgprSizeI]           // coord0 < size0
v_cmp_lt_u32 s[58:59], v1, s[sgprSizeJ]            // coord1 < size1
s_and_b64 s[58:59], s[54:55], s[58:59]             // in0 && in1
_v_add_lshl_u32 v19, v2, v10, 0x0                  // scaleToBpe: accumulate d0 lower and *= bpe into Cin addr
v_cndmask_b32 v19, -1, v19, s[58:59]               // LDC clip if OOB. offset
buffer_load_ubyte v20, v19, s[sgprSrdC:sgprSrdC+3], 0, offen offset:0 // load C for beta calc
_v_add_lshl_u32 v19, v3, v10, 0x0                  // scaleToBpe: accumulate d0 lower and *= bpe into Cin addr
v_cndmask_b32 v19, -1, v19, s[58:59]               // LDD clip if OOB. offset
/* (d1,vc1,d0,vc0)=(3,0,0,2) */
_v_add_co_u32 v10, vcc, v0, 2                      // coord0.1: coord0 += d0*sg0*VW + vc0
v_cmp_lt_u32 s[54:55], v10, s[sgprSizeI]           // coord0 < size0
v_cmp_lt_u32 s[58:59], v1, s[sgprSizeJ]            // coord1 < size1
s_and_b64 s[58:59], s[54:55], s[58:59]             // in0 && in1
_v_add_lshl_u32 v22, v2, v10, 0x0                  // scaleToBpe: accumulate d0 lower and *= bpe into Cin addr
v_cndmask_b32 v22, -1, v22, s[58:59]               // LDC clip if OOB. offset
buffer_load_ubyte v23, v22, s[sgprSrdC:sgprSrdC+3], 0, offen offset:0 // load C for beta calc
_v_add_lshl_u32 v22, v3, v10, 0x0                  // scaleToBpe: accumulate d0 lower and *= bpe into Cin addr
v_cndmask_b32 v22, -1, v22, s[58:59]               // LDD clip if OOB. offset
	;; [unrolled: 10-line block ×5, first 2 shown]
/* (d1,vc1,d0,vc0)=(3,0,1,2) */
_v_add_co_u32 v10, vcc, v0, 10                     // coord0.1: coord0 += d0*sg0*VW + vc0
v_cmp_lt_u32 s[54:55], v10, s[sgprSizeI]           // coord0 < size0
v_cmp_lt_u32 s[58:59], v1, s[sgprSizeJ]            // coord1 < size1
s_and_b64 s[58:59], s[54:55], s[58:59]             // in0 && in1
_v_add_lshl_u32 v34, v2, v10, 0x0                  // scaleToBpe: accumulate d0 lower and *= bpe into Cin addr
v_cndmask_b32 v34, -1, v34, s[58:59]               // LDC clip if OOB. offset
buffer_load_ubyte v35, v34, s[sgprSrdC:sgprSrdC+3], 0, offen offset:0 // load C for beta calc
_v_add_lshl_u32 v34, v3, v10, 0x0                  // scaleToBpe: accumulate d0 lower and *= bpe into Cin addr
v_cndmask_b32 v34, -1, v34, s[58:59]               // LDD clip if OOB. offset
/* (d1,vc1,d0,vc0)=(3,0,1,3) */
_v_add_co_u32 v10, vcc, v0, 11                     // coord0.1: coord0 += d0*sg0*VW + vc0
v_cmp_lt_u32 s[54:55], v10, s[sgprSizeI]           // coord0 < size0
v_cmp_lt_u32 s[58:59], v1, s[sgprSizeJ]            // coord1 < size1
s_and_b64 s[58:59], s[54:55], s[58:59]             // in0 && in1
_v_add_lshl_u32 v37, v2, v10, 0x0                  // scaleToBpe: accumulate d0 lower and *= bpe into Cin addr
v_cndmask_b32 v37, -1, v37, s[58:59]               // LDC clip if OOB. offset
buffer_load_ubyte v38, v37, s[sgprSrdC:sgprSrdC+3], 0, offen offset:0 // load C for beta calc
_v_add_lshl_u32 v37, v3, v10, 0x0                  // scaleToBpe: accumulate d0 lower and *= bpe into Cin addr
v_cndmask_b32 v37, -1, v37, s[58:59]               // LDD clip if OOB. offset
v_accvgpr_read_b32 v[vgprValuC+18], acc96 // copy acc to vreg[96]
v_accvgpr_read_b32 v[vgprValuC+21], acc97 // copy acc to vreg[97]
v_accvgpr_read_b32 v[vgprValuC+24], acc98 // copy acc to vreg[98]
v_accvgpr_read_b32 v[vgprValuC+27], acc99 // copy acc to vreg[99]
v_accvgpr_read_b32 v[vgprValuC+30], acc100 // copy acc to vreg[100]
v_accvgpr_read_b32 v[vgprValuC+33], acc101 // copy acc to vreg[101]
v_accvgpr_read_b32 v[vgprValuC+36], acc102 // copy acc to vreg[102]
v_accvgpr_read_b32 v[vgprValuC+39], acc103 // copy acc to vreg[103]
s_nop 1                                            // 2 wait states required before reading vgpr

/* rC *= alpha batchElements=[(3, 0, 0, 0), (3, 0, 0, 1), (3, 0, 0, 2), (3, 0, 0, 3), (3, 1, 0, 0), (3, 1, 0, 1), (3, 1, 0, 2), (3, 1, 0, 3)] */
v_mul_f32 v[vgprValuC+18], s[sgprAlpha], v[vgprValuC+18] // *= alpha
v_mul_f32 v[vgprValuC+21], s[sgprAlpha], v[vgprValuC+21] // *= alpha
	;; [unrolled: 1-line block ×8, first 2 shown]
s_waitcnt vmcnt(0)                                 // wait C

/* apply mask, calc new C and issue writes */
v_mov_b32 v16, 0x207                               // flag for Nan and +/- inf
v_mov_b32 v14, 0x43700000                          // save 240.0f as max for clipping
v_mov_b32 v15, 0xC3700000                          // save -240.0f as min for clipping

/* StoreRemap: shift coord1 address */
s_mul_i32 s54, s[sgprStrideD1J], 32                // scale StrideD *= numRows(32) * bpe
s_add_u32  s[sgprSrdD+0], s[sgprSrdD+0], s54       // incToNextRow: gra SRD += inc(lower)
s_addc_u32  s[sgprSrdD+1], s[sgprSrdD+1], 0        // incToNextRow: gra SRD += inc(upper)
v_mov_b32 v10, 32                                  // set shift rows
_v_add_u32 v5, v5, v10                             // shift storeRemap coord1
v_cvt_f32_fp8 v12, v17 src0_sel:BYTE_0   // convert fp8 in lo_byte[0] to f32
_v_mac_f32 v[vgprValuC+18], v12, s[sgprBeta]       // finalSum = sum*alpha + C*beta
v_cmp_class_f32 s[54:55], v[vgprValuC+18], v16     // check NaN and +/-INF
v_med3_f32 v12, v[vgprValuC+18], v14, v15          // Clipping f32 value if exceeds the limit
v_cndmask_b32 v12, v12, v[vgprValuC+18], s[54:55]  // 
v_cvt_pk_fp8_f32  v18, v12, v12                    // convert f32 accumulated values to fp8
ds_write_b8 v7, v18, offset:0                      // storeRemap lw
v_cvt_f32_fp8 v12, v20 src0_sel:BYTE_0   // convert fp8 in lo_byte[0] to f32
_v_mac_f32 v[vgprValuC+21], v12, s[sgprBeta]       // finalSum = sum*alpha + C*beta
v_cmp_class_f32 s[54:55], v[vgprValuC+21], v16     // check NaN and +/-INF
v_med3_f32 v12, v[vgprValuC+21], v14, v15          // Clipping f32 value if exceeds the limit
v_cndmask_b32 v12, v12, v[vgprValuC+21], s[54:55]  // 
v_cvt_pk_fp8_f32  v21, v12, v12                    // convert f32 accumulated values to fp8
ds_write_b8 v7, v21, offset:1                      // storeRemap lw
	;; [unrolled: 7-line block ×6, first 2 shown]
v_cvt_f32_fp8 v12, v35 src0_sel:BYTE_0   // convert fp8 in lo_byte[0] to f32
_v_mac_f32 v[vgprValuC+36], v12, s[sgprBeta]       // finalSum = sum*alpha + C*beta
v_cmp_class_f32 s[54:55], v[vgprValuC+36], v16     // check NaN and +/-INF
v_med3_f32 v12, v[vgprValuC+36], v14, v15          // Clipping f32 value if exceeds the limit
v_cndmask_b32 v12, v12, v[vgprValuC+36], s[54:55]  // 
v_cvt_pk_fp8_f32  v36, v12, v12                    // convert f32 accumulated values to fp8
ds_write_b8 v7, v36, offset:10                     // storeRemap lw
v_cvt_f32_fp8 v12, v38 src0_sel:BYTE_0   // convert fp8 in lo_byte[0] to f32
_v_mac_f32 v[vgprValuC+39], v12, s[sgprBeta]       // finalSum = sum*alpha + C*beta
v_cmp_class_f32 s[54:55], v[vgprValuC+39], v16     // check NaN and +/-INF
v_med3_f32 v12, v[vgprValuC+39], v14, v15          // Clipping f32 value if exceeds the limit
v_cndmask_b32 v12, v12, v[vgprValuC+39], s[54:55]  // 
v_cvt_pk_fp8_f32  v39, v12, v12                    // convert f32 accumulated values to fp8
ds_write_b8 v7, v39, offset:11                     // storeRemap lw
s_nop 0                                            // 1 wait state required when next inst writes vgprs held by previous dwordx4 store inst
/* optSingleColVgpr=0 optSharedColVgpr=0 optSGPRUsage=BufferLoad_Edge_Mask optSrdIncForRow=1 */

/******************************************/
/* Global Write Alpha Beta Edge Batch #13 (d1,d0,vc1,vc0) = */
/*    (3,2,0,0:vw1); (3,2,0,1:vw1); (3,2,0,2:vw1); (3,2,0,3:vw1); (3,3,0,0:vw1); (3,3,0,1:vw1); (3,3,0,2:vw1); (3,3,0,3:vw1) */
/******************************************/

/* calc coords, apply mask, and issue loads (if necessary) */
/* (d1,vc1,d0,vc0)=(3,0,2,0) */
_v_add_co_u32 v10, vcc, v0, 16                     // coord0.1: coord0 += d0*sg0*VW + vc0
v_cmp_lt_u32 s[54:55], v10, s[sgprSizeI]           // coord0 < size0
v_cmp_lt_u32 s[58:59], v1, s[sgprSizeJ]            // coord1 < size1
s_and_b64 s[58:59], s[54:55], s[58:59]             // in0 && in1
_v_add_lshl_u32 v9, v2, v10, 0x0                   // scaleToBpe: accumulate d0 lower and *= bpe into Cin addr
v_cndmask_b32 v9, -1, v9, s[58:59]                 // LDC clip if OOB. offset
buffer_load_ubyte v17, v9, s[sgprSrdC:sgprSrdC+3], 0, offen offset:0 // load C for beta calc
_v_add_lshl_u32 v9, v3, v10, 0x0                   // scaleToBpe: accumulate d0 lower and *= bpe into Cin addr
v_cndmask_b32 v9, -1, v9, s[58:59]                 // LDD clip if OOB. offset
/* (d1,vc1,d0,vc0)=(3,0,2,1) */
_v_add_co_u32 v10, vcc, v0, 17                     // coord0.1: coord0 += d0*sg0*VW + vc0
v_cmp_lt_u32 s[54:55], v10, s[sgprSizeI]           // coord0 < size0
v_cmp_lt_u32 s[58:59], v1, s[sgprSizeJ]            // coord1 < size1
s_and_b64 s[58:59], s[54:55], s[58:59]             // in0 && in1
_v_add_lshl_u32 v19, v2, v10, 0x0                  // scaleToBpe: accumulate d0 lower and *= bpe into Cin addr
v_cndmask_b32 v19, -1, v19, s[58:59]               // LDC clip if OOB. offset
buffer_load_ubyte v20, v19, s[sgprSrdC:sgprSrdC+3], 0, offen offset:0 // load C for beta calc
_v_add_lshl_u32 v19, v3, v10, 0x0                  // scaleToBpe: accumulate d0 lower and *= bpe into Cin addr
v_cndmask_b32 v19, -1, v19, s[58:59]               // LDD clip if OOB. offset
/* (d1,vc1,d0,vc0)=(3,0,2,2) */
_v_add_co_u32 v10, vcc, v0, 18                     // coord0.1: coord0 += d0*sg0*VW + vc0
v_cmp_lt_u32 s[54:55], v10, s[sgprSizeI]           // coord0 < size0
v_cmp_lt_u32 s[58:59], v1, s[sgprSizeJ]            // coord1 < size1
s_and_b64 s[58:59], s[54:55], s[58:59]             // in0 && in1
_v_add_lshl_u32 v22, v2, v10, 0x0                  // scaleToBpe: accumulate d0 lower and *= bpe into Cin addr
v_cndmask_b32 v22, -1, v22, s[58:59]               // LDC clip if OOB. offset
buffer_load_ubyte v23, v22, s[sgprSrdC:sgprSrdC+3], 0, offen offset:0 // load C for beta calc
_v_add_lshl_u32 v22, v3, v10, 0x0                  // scaleToBpe: accumulate d0 lower and *= bpe into Cin addr
v_cndmask_b32 v22, -1, v22, s[58:59]               // LDD clip if OOB. offset
	;; [unrolled: 10-line block ×7, first 2 shown]
v_accvgpr_read_b32 v[vgprValuC+18], acc104 // copy acc to vreg[104]
v_accvgpr_read_b32 v[vgprValuC+21], acc105 // copy acc to vreg[105]
v_accvgpr_read_b32 v[vgprValuC+24], acc106 // copy acc to vreg[106]
v_accvgpr_read_b32 v[vgprValuC+27], acc107 // copy acc to vreg[107]
v_accvgpr_read_b32 v[vgprValuC+30], acc108 // copy acc to vreg[108]
v_accvgpr_read_b32 v[vgprValuC+33], acc109 // copy acc to vreg[109]
v_accvgpr_read_b32 v[vgprValuC+36], acc110 // copy acc to vreg[110]
v_accvgpr_read_b32 v[vgprValuC+39], acc111 // copy acc to vreg[111]
s_nop 1                                            // 2 wait states required before reading vgpr

/* rC *= alpha batchElements=[(3, 2, 0, 0), (3, 2, 0, 1), (3, 2, 0, 2), (3, 2, 0, 3), (3, 3, 0, 0), (3, 3, 0, 1), (3, 3, 0, 2), (3, 3, 0, 3)] */
v_mul_f32 v[vgprValuC+18], s[sgprAlpha], v[vgprValuC+18] // *= alpha
v_mul_f32 v[vgprValuC+21], s[sgprAlpha], v[vgprValuC+21] // *= alpha
	;; [unrolled: 1-line block ×8, first 2 shown]
s_waitcnt vmcnt(0)                                 // wait C

/* apply mask, calc new C and issue writes */
v_mov_b32 v16, 0x207                               // flag for Nan and +/- inf
v_mov_b32 v14, 0x43700000                          // save 240.0f as max for clipping
v_mov_b32 v15, 0xC3700000                          // save -240.0f as min for clipping
v_cvt_f32_fp8 v12, v17 src0_sel:BYTE_0   // convert fp8 in lo_byte[0] to f32
_v_mac_f32 v[vgprValuC+18], v12, s[sgprBeta]       // finalSum = sum*alpha + C*beta
v_cmp_class_f32 s[54:55], v[vgprValuC+18], v16     // check NaN and +/-INF
v_med3_f32 v12, v[vgprValuC+18], v14, v15          // Clipping f32 value if exceeds the limit
v_cndmask_b32 v12, v12, v[vgprValuC+18], s[54:55]  // 
v_cvt_pk_fp8_f32  v18, v12, v12                    // convert f32 accumulated values to fp8
ds_write_b8 v7, v18, offset:16                     // storeRemap lw
v_cvt_f32_fp8 v12, v20 src0_sel:BYTE_0   // convert fp8 in lo_byte[0] to f32
_v_mac_f32 v[vgprValuC+21], v12, s[sgprBeta]       // finalSum = sum*alpha + C*beta
v_cmp_class_f32 s[54:55], v[vgprValuC+21], v16     // check NaN and +/-INF
v_med3_f32 v12, v[vgprValuC+21], v14, v15          // Clipping f32 value if exceeds the limit
v_cndmask_b32 v12, v12, v[vgprValuC+21], s[54:55]  // 
v_cvt_pk_fp8_f32  v21, v12, v12                    // convert f32 accumulated values to fp8
ds_write_b8 v7, v21, offset:17                     // storeRemap lw
	;; [unrolled: 7-line block ×8, first 2 shown]
s_nop 0                                            // 1 wait state required when next inst writes vgprs held by previous dwordx4 store inst
/* optSingleColVgpr=0 optSharedColVgpr=0 optSGPRUsage=BufferLoad_Edge_Mask optSrdIncForRow=1 */

/******************************************/
/* Global Write Alpha Beta Edge Batch #14 (d1,d0,vc1,vc0) = */
/*    (3,4,0,0:vw1); (3,4,0,1:vw1); (3,4,0,2:vw1); (3,4,0,3:vw1); (3,5,0,0:vw1); (3,5,0,1:vw1); (3,5,0,2:vw1); (3,5,0,3:vw1) */
/******************************************/

/* calc coords, apply mask, and issue loads (if necessary) */
/* (d1,vc1,d0,vc0)=(3,0,4,0) */
s_mov_b32 s54, 128                                 // coordOffset0 d0=4 vc0=0
_v_add_co_u32 v10, vcc, v0, s54                    // coord0.2: coord0 += d0*sg0*VW + vc0
v_cmp_lt_u32 s[54:55], v10, s[sgprSizeI]           // coord0 < size0
v_cmp_lt_u32 s[58:59], v1, s[sgprSizeJ]            // coord1 < size1
s_and_b64 s[58:59], s[54:55], s[58:59]             // in0 && in1
_v_add_lshl_u32 v9, v2, v10, 0x0                   // scaleToBpe: accumulate d0 lower and *= bpe into Cin addr
v_cndmask_b32 v9, -1, v9, s[58:59]                 // LDC clip if OOB. offset
buffer_load_ubyte v17, v9, s[sgprSrdC:sgprSrdC+3], 0, offen offset:0 // load C for beta calc
_v_add_lshl_u32 v9, v3, v10, 0x0                   // scaleToBpe: accumulate d0 lower and *= bpe into Cin addr
v_cndmask_b32 v9, -1, v9, s[58:59]                 // LDD clip if OOB. offset
/* (d1,vc1,d0,vc0)=(3,0,4,1) */
s_mov_b32 s54, 129                                 // coordOffset0 d0=4 vc0=1
_v_add_co_u32 v10, vcc, v0, s54                    // coord0.2: coord0 += d0*sg0*VW + vc0
v_cmp_lt_u32 s[54:55], v10, s[sgprSizeI]           // coord0 < size0
v_cmp_lt_u32 s[58:59], v1, s[sgprSizeJ]            // coord1 < size1
s_and_b64 s[58:59], s[54:55], s[58:59]             // in0 && in1
_v_add_lshl_u32 v19, v2, v10, 0x0                  // scaleToBpe: accumulate d0 lower and *= bpe into Cin addr
v_cndmask_b32 v19, -1, v19, s[58:59]               // LDC clip if OOB. offset
buffer_load_ubyte v20, v19, s[sgprSrdC:sgprSrdC+3], 0, offen offset:0 // load C for beta calc
_v_add_lshl_u32 v19, v3, v10, 0x0                  // scaleToBpe: accumulate d0 lower and *= bpe into Cin addr
v_cndmask_b32 v19, -1, v19, s[58:59]               // LDD clip if OOB. offset
/* (d1,vc1,d0,vc0)=(3,0,4,2) */
s_mov_b32 s54, 130                                 // coordOffset0 d0=4 vc0=2
_v_add_co_u32 v10, vcc, v0, s54                    // coord0.2: coord0 += d0*sg0*VW + vc0
v_cmp_lt_u32 s[54:55], v10, s[sgprSizeI]           // coord0 < size0
v_cmp_lt_u32 s[58:59], v1, s[sgprSizeJ]            // coord1 < size1
s_and_b64 s[58:59], s[54:55], s[58:59]             // in0 && in1
_v_add_lshl_u32 v22, v2, v10, 0x0                  // scaleToBpe: accumulate d0 lower and *= bpe into Cin addr
v_cndmask_b32 v22, -1, v22, s[58:59]               // LDC clip if OOB. offset
buffer_load_ubyte v23, v22, s[sgprSrdC:sgprSrdC+3], 0, offen offset:0 // load C for beta calc
_v_add_lshl_u32 v22, v3, v10, 0x0                  // scaleToBpe: accumulate d0 lower and *= bpe into Cin addr
v_cndmask_b32 v22, -1, v22, s[58:59]               // LDD clip if OOB. offset
	;; [unrolled: 11-line block ×7, first 2 shown]
v_accvgpr_read_b32 v[vgprValuC+18], acc112 // copy acc to vreg[112]
v_accvgpr_read_b32 v[vgprValuC+21], acc113 // copy acc to vreg[113]
v_accvgpr_read_b32 v[vgprValuC+24], acc114 // copy acc to vreg[114]
v_accvgpr_read_b32 v[vgprValuC+27], acc115 // copy acc to vreg[115]
v_accvgpr_read_b32 v[vgprValuC+30], acc116 // copy acc to vreg[116]
v_accvgpr_read_b32 v[vgprValuC+33], acc117 // copy acc to vreg[117]
v_accvgpr_read_b32 v[vgprValuC+36], acc118 // copy acc to vreg[118]
v_accvgpr_read_b32 v[vgprValuC+39], acc119 // copy acc to vreg[119]
s_nop 1                                            // 2 wait states required before reading vgpr

/* rC *= alpha batchElements=[(3, 4, 0, 0), (3, 4, 0, 1), (3, 4, 0, 2), (3, 4, 0, 3), (3, 5, 0, 0), (3, 5, 0, 1), (3, 5, 0, 2), (3, 5, 0, 3)] */
v_mul_f32 v[vgprValuC+18], s[sgprAlpha], v[vgprValuC+18] // *= alpha
v_mul_f32 v[vgprValuC+21], s[sgprAlpha], v[vgprValuC+21] // *= alpha
	;; [unrolled: 1-line block ×8, first 2 shown]
s_waitcnt vmcnt(0)                                 // wait C

/* apply mask, calc new C and issue writes */
v_mov_b32 v16, 0x207                               // flag for Nan and +/- inf
v_mov_b32 v14, 0x43700000                          // save 240.0f as max for clipping
v_mov_b32 v15, 0xC3700000                          // save -240.0f as min for clipping
v_cvt_f32_fp8 v12, v17 src0_sel:BYTE_0   // convert fp8 in lo_byte[0] to f32
_v_mac_f32 v[vgprValuC+18], v12, s[sgprBeta]       // finalSum = sum*alpha + C*beta
v_cmp_class_f32 s[54:55], v[vgprValuC+18], v16     // check NaN and +/-INF
v_med3_f32 v12, v[vgprValuC+18], v14, v15          // Clipping f32 value if exceeds the limit
v_cndmask_b32 v12, v12, v[vgprValuC+18], s[54:55]  // 
v_cvt_pk_fp8_f32  v18, v12, v12                    // convert f32 accumulated values to fp8
ds_write_b8 v7, v18, offset:128                    // storeRemap lw
v_cvt_f32_fp8 v12, v20 src0_sel:BYTE_0   // convert fp8 in lo_byte[0] to f32
_v_mac_f32 v[vgprValuC+21], v12, s[sgprBeta]       // finalSum = sum*alpha + C*beta
v_cmp_class_f32 s[54:55], v[vgprValuC+21], v16     // check NaN and +/-INF
v_med3_f32 v12, v[vgprValuC+21], v14, v15          // Clipping f32 value if exceeds the limit
v_cndmask_b32 v12, v12, v[vgprValuC+21], s[54:55]  // 
v_cvt_pk_fp8_f32  v21, v12, v12                    // convert f32 accumulated values to fp8
ds_write_b8 v7, v21, offset:129                    // storeRemap lw
	;; [unrolled: 7-line block ×8, first 2 shown]
s_nop 0                                            // 1 wait state required when next inst writes vgprs held by previous dwordx4 store inst
/* optSingleColVgpr=0 optSharedColVgpr=0 optSGPRUsage=BufferLoad_Edge_Mask optSrdIncForRow=1 */

/******************************************/
/* Global Write Alpha Beta Edge Batch #15 (d1,d0,vc1,vc0) = */
/*    (3,6,0,0:vw1); (3,6,0,1:vw1); (3,6,0,2:vw1); (3,6,0,3:vw1); (3,7,0,0:vw1); (3,7,0,1:vw1); (3,7,0,2:vw1); (3,7,0,3:vw1) */
/******************************************/

/* calc coords, apply mask, and issue loads (if necessary) */
/* (d1,vc1,d0,vc0)=(3,0,6,0) */
s_mov_b32 s54, 144                                 // coordOffset0 d0=6 vc0=0
_v_add_co_u32 v10, vcc, v0, s54                    // coord0.2: coord0 += d0*sg0*VW + vc0
v_cmp_lt_u32 s[54:55], v10, s[sgprSizeI]           // coord0 < size0
v_cmp_lt_u32 s[58:59], v1, s[sgprSizeJ]            // coord1 < size1
s_and_b64 s[58:59], s[54:55], s[58:59]             // in0 && in1
_v_add_lshl_u32 v9, v2, v10, 0x0                   // scaleToBpe: accumulate d0 lower and *= bpe into Cin addr
v_cndmask_b32 v9, -1, v9, s[58:59]                 // LDC clip if OOB. offset
buffer_load_ubyte v17, v9, s[sgprSrdC:sgprSrdC+3], 0, offen offset:0 // load C for beta calc
_v_add_lshl_u32 v9, v3, v10, 0x0                   // scaleToBpe: accumulate d0 lower and *= bpe into Cin addr
v_cndmask_b32 v9, -1, v9, s[58:59]                 // LDD clip if OOB. offset
/* (d1,vc1,d0,vc0)=(3,0,6,1) */
s_mov_b32 s54, 145                                 // coordOffset0 d0=6 vc0=1
_v_add_co_u32 v10, vcc, v0, s54                    // coord0.2: coord0 += d0*sg0*VW + vc0
v_cmp_lt_u32 s[54:55], v10, s[sgprSizeI]           // coord0 < size0
v_cmp_lt_u32 s[58:59], v1, s[sgprSizeJ]            // coord1 < size1
s_and_b64 s[58:59], s[54:55], s[58:59]             // in0 && in1
_v_add_lshl_u32 v19, v2, v10, 0x0                  // scaleToBpe: accumulate d0 lower and *= bpe into Cin addr
v_cndmask_b32 v19, -1, v19, s[58:59]               // LDC clip if OOB. offset
buffer_load_ubyte v20, v19, s[sgprSrdC:sgprSrdC+3], 0, offen offset:0 // load C for beta calc
_v_add_lshl_u32 v19, v3, v10, 0x0                  // scaleToBpe: accumulate d0 lower and *= bpe into Cin addr
v_cndmask_b32 v19, -1, v19, s[58:59]               // LDD clip if OOB. offset
/* (d1,vc1,d0,vc0)=(3,0,6,2) */
s_mov_b32 s54, 146                                 // coordOffset0 d0=6 vc0=2
_v_add_co_u32 v10, vcc, v0, s54                    // coord0.2: coord0 += d0*sg0*VW + vc0
v_cmp_lt_u32 s[54:55], v10, s[sgprSizeI]           // coord0 < size0
v_cmp_lt_u32 s[58:59], v1, s[sgprSizeJ]            // coord1 < size1
s_and_b64 s[58:59], s[54:55], s[58:59]             // in0 && in1
_v_add_lshl_u32 v22, v2, v10, 0x0                  // scaleToBpe: accumulate d0 lower and *= bpe into Cin addr
v_cndmask_b32 v22, -1, v22, s[58:59]               // LDC clip if OOB. offset
buffer_load_ubyte v23, v22, s[sgprSrdC:sgprSrdC+3], 0, offen offset:0 // load C for beta calc
_v_add_lshl_u32 v22, v3, v10, 0x0                  // scaleToBpe: accumulate d0 lower and *= bpe into Cin addr
v_cndmask_b32 v22, -1, v22, s[58:59]               // LDD clip if OOB. offset
/* (d1,vc1,d0,vc0)=(3,0,6,3) */
s_mov_b32 s54, 147                                 // coordOffset0 d0=6 vc0=3
_v_add_co_u32 v10, vcc, v0, s54                    // coord0.2: coord0 += d0*sg0*VW + vc0
v_cmp_lt_u32 s[54:55], v10, s[sgprSizeI]           // coord0 < size0
v_cmp_lt_u32 s[58:59], v1, s[sgprSizeJ]            // coord1 < size1
s_and_b64 s[58:59], s[54:55], s[58:59]             // in0 && in1
_v_add_lshl_u32 v25, v2, v10, 0x0                  // scaleToBpe: accumulate d0 lower and *= bpe into Cin addr
v_cndmask_b32 v25, -1, v25, s[58:59]               // LDC clip if OOB. offset
buffer_load_ubyte v26, v25, s[sgprSrdC:sgprSrdC+3], 0, offen offset:0 // load C for beta calc
_v_add_lshl_u32 v25, v3, v10, 0x0                  // scaleToBpe: accumulate d0 lower and *= bpe into Cin addr
v_cndmask_b32 v25, -1, v25, s[58:59]               // LDD clip if OOB. offset
/* (d1,vc1,d0,vc0)=(3,0,7,0) */
s_mov_b32 s54, 152                                 // coordOffset0 d0=7 vc0=0
_v_add_co_u32 v10, vcc, v0, s54                    // coord0.2: coord0 += d0*sg0*VW + vc0
v_cmp_lt_u32 s[54:55], v10, s[sgprSizeI]           // coord0 < size0
v_cmp_lt_u32 s[58:59], v1, s[sgprSizeJ]            // coord1 < size1
s_and_b64 s[58:59], s[54:55], s[58:59]             // in0 && in1
_v_add_lshl_u32 v28, v2, v10, 0x0                  // scaleToBpe: accumulate d0 lower and *= bpe into Cin addr
v_cndmask_b32 v28, -1, v28, s[58:59]               // LDC clip if OOB. offset
buffer_load_ubyte v29, v28, s[sgprSrdC:sgprSrdC+3], 0, offen offset:0 // load C for beta calc
_v_add_lshl_u32 v28, v3, v10, 0x0                  // scaleToBpe: accumulate d0 lower and *= bpe into Cin addr
v_cndmask_b32 v28, -1, v28, s[58:59]               // LDD clip if OOB. offset
/* (d1,vc1,d0,vc0)=(3,0,7,1) */
s_mov_b32 s54, 153                                 // coordOffset0 d0=7 vc0=1
_v_add_co_u32 v10, vcc, v0, s54                    // coord0.2: coord0 += d0*sg0*VW + vc0
v_cmp_lt_u32 s[54:55], v10, s[sgprSizeI]           // coord0 < size0
v_cmp_lt_u32 s[58:59], v1, s[sgprSizeJ]            // coord1 < size1
s_and_b64 s[58:59], s[54:55], s[58:59]             // in0 && in1
_v_add_lshl_u32 v31, v2, v10, 0x0                  // scaleToBpe: accumulate d0 lower and *= bpe into Cin addr
v_cndmask_b32 v31, -1, v31, s[58:59]               // LDC clip if OOB. offset
buffer_load_ubyte v32, v31, s[sgprSrdC:sgprSrdC+3], 0, offen offset:0 // load C for beta calc
_v_add_lshl_u32 v31, v3, v10, 0x0                  // scaleToBpe: accumulate d0 lower and *= bpe into Cin addr
v_cndmask_b32 v31, -1, v31, s[58:59]               // LDD clip if OOB. offset
/* (d1,vc1,d0,vc0)=(3,0,7,2) */
s_mov_b32 s54, 154                                 // coordOffset0 d0=7 vc0=2
_v_add_co_u32 v10, vcc, v0, s54                    // coord0.2: coord0 += d0*sg0*VW + vc0
v_cmp_lt_u32 s[54:55], v10, s[sgprSizeI]           // coord0 < size0
v_cmp_lt_u32 s[58:59], v1, s[sgprSizeJ]            // coord1 < size1
s_and_b64 s[58:59], s[54:55], s[58:59]             // in0 && in1
_v_add_lshl_u32 v34, v2, v10, 0x0                  // scaleToBpe: accumulate d0 lower and *= bpe into Cin addr
v_cndmask_b32 v34, -1, v34, s[58:59]               // LDC clip if OOB. offset
buffer_load_ubyte v35, v34, s[sgprSrdC:sgprSrdC+3], 0, offen offset:0 // load C for beta calc
_v_add_lshl_u32 v34, v3, v10, 0x0                  // scaleToBpe: accumulate d0 lower and *= bpe into Cin addr
v_cndmask_b32 v34, -1, v34, s[58:59]               // LDD clip if OOB. offset
/* (d1,vc1,d0,vc0)=(3,0,7,3) */
s_mov_b32 s54, 155                                 // coordOffset0 d0=7 vc0=3
_v_add_co_u32 v10, vcc, v0, s54                    // coord0.2: coord0 += d0*sg0*VW + vc0
v_cmp_lt_u32 s[54:55], v10, s[sgprSizeI]           // coord0 < size0
v_cmp_lt_u32 s[58:59], v1, s[sgprSizeJ]            // coord1 < size1
s_and_b64 s[58:59], s[54:55], s[58:59]             // in0 && in1
_v_add_lshl_u32 v37, v2, v10, 0x0                  // scaleToBpe: accumulate d0 lower and *= bpe into Cin addr
v_cndmask_b32 v37, -1, v37, s[58:59]               // LDC clip if OOB. offset
buffer_load_ubyte v38, v37, s[sgprSrdC:sgprSrdC+3], 0, offen offset:0 // load C for beta calc
_v_add_lshl_u32 v37, v3, v10, 0x0                  // scaleToBpe: accumulate d0 lower and *= bpe into Cin addr
v_cndmask_b32 v37, -1, v37, s[58:59]               // LDD clip if OOB. offset
v_accvgpr_read_b32 v[vgprValuC+18], acc120 // copy acc to vreg[120]
v_accvgpr_read_b32 v[vgprValuC+21], acc121 // copy acc to vreg[121]
v_accvgpr_read_b32 v[vgprValuC+24], acc122 // copy acc to vreg[122]
v_accvgpr_read_b32 v[vgprValuC+27], acc123 // copy acc to vreg[123]
v_accvgpr_read_b32 v[vgprValuC+30], acc124 // copy acc to vreg[124]
v_accvgpr_read_b32 v[vgprValuC+33], acc125 // copy acc to vreg[125]
v_accvgpr_read_b32 v[vgprValuC+36], acc126 // copy acc to vreg[126]
v_accvgpr_read_b32 v[vgprValuC+39], acc127 // copy acc to vreg[127]
s_nop 1                                            // 2 wait states required before reading vgpr

/* rC *= alpha batchElements=[(3, 6, 0, 0), (3, 6, 0, 1), (3, 6, 0, 2), (3, 6, 0, 3), (3, 7, 0, 0), (3, 7, 0, 1), (3, 7, 0, 2), (3, 7, 0, 3)] */
v_mul_f32 v[vgprValuC+18], s[sgprAlpha], v[vgprValuC+18] // *= alpha
v_mul_f32 v[vgprValuC+21], s[sgprAlpha], v[vgprValuC+21] // *= alpha
	;; [unrolled: 1-line block ×8, first 2 shown]
s_waitcnt vmcnt(0)                                 // wait C

/* apply mask, calc new C and issue writes */
v_mov_b32 v16, 0x207                               // flag for Nan and +/- inf
v_mov_b32 v14, 0x43700000                          // save 240.0f as max for clipping
v_mov_b32 v15, 0xC3700000                          // save -240.0f as min for clipping
v_cvt_f32_fp8 v12, v17 src0_sel:BYTE_0   // convert fp8 in lo_byte[0] to f32
_v_mac_f32 v[vgprValuC+18], v12, s[sgprBeta]       // finalSum = sum*alpha + C*beta
v_cmp_class_f32 s[54:55], v[vgprValuC+18], v16     // check NaN and +/-INF
v_med3_f32 v12, v[vgprValuC+18], v14, v15          // Clipping f32 value if exceeds the limit
v_cndmask_b32 v12, v12, v[vgprValuC+18], s[54:55]  // 
v_cvt_pk_fp8_f32  v18, v12, v12                    // convert f32 accumulated values to fp8
ds_write_b8 v7, v18, offset:144                    // storeRemap lw
v_cvt_f32_fp8 v12, v20 src0_sel:BYTE_0   // convert fp8 in lo_byte[0] to f32
_v_mac_f32 v[vgprValuC+21], v12, s[sgprBeta]       // finalSum = sum*alpha + C*beta
v_cmp_class_f32 s[54:55], v[vgprValuC+21], v16     // check NaN and +/-INF
v_med3_f32 v12, v[vgprValuC+21], v14, v15          // Clipping f32 value if exceeds the limit
v_cndmask_b32 v12, v12, v[vgprValuC+21], s[54:55]  // 
v_cvt_pk_fp8_f32  v21, v12, v12                    // convert f32 accumulated values to fp8
ds_write_b8 v7, v21, offset:145                    // storeRemap lw
	;; [unrolled: 7-line block ×8, first 2 shown]

/* Handle local read and global write */
s_waitcnt lgkmcnt(0)                               // wait for LDS write
s_barrier //wait all lds write finished

_ds_load_b128 v[20:23], v8, offset:0               // storeRemap lr
_ds_load_b128 v[24:27], v8, offset:1088            // storeRemap lr

s_waitcnt lgkmcnt(1)                               // wait for LDS read
_v_add_u32 v11, v5, 0                              // coord1 += nColPerLoad
_v_add_u32 v10, v4, 0                              // coord0 += element index of load vector
_v_add_u32 v9, v6, 0                               // offset coord1 += nColPerLoad
v_cmp_lt_u32 s[54:55], v10, s[sgprSizeI]           // coord0 < size0
v_cmp_lt_u32 s[56:57], v11, s[sgprSizeJ]           // coord1 < size1
s_and_b64 s[56:57], s[54:55], s[56:57]             // in0 && in1
v_mul_lo_u32 v9, v9, s[sgprStrideD1J]              // coord1 element offset =  coord1 * StrideD
_v_add_lshl_u32 v9, v9, v10, 0x0                   // scale to BPE
v_cndmask_b32 v9, -1, v9, s[56:57]                 // clip if OOB. offset
buffer_store_byte v20, v9, s[sgprSrdD:sgprSrdD+3], 0, offen, offset:0 // store D
_v_add_u32 v11, v5, 0                              // coord1 += nColPerLoad
_v_add_u32 v10, v4, 1                              // coord0 += element index of load vector
_v_add_u32 v9, v6, 0                               // offset coord1 += nColPerLoad
v_cmp_lt_u32 s[54:55], v10, s[sgprSizeI]           // coord0 < size0
v_cmp_lt_u32 s[56:57], v11, s[sgprSizeJ]           // coord1 < size1
s_and_b64 s[56:57], s[54:55], s[56:57]             // in0 && in1
v_mul_lo_u32 v9, v9, s[sgprStrideD1J]              // coord1 element offset =  coord1 * StrideD
_v_add_lshl_u32 v9, v9, v10, 0x0                   // scale to BPE
v_cndmask_b32 v9, -1, v9, s[56:57]                 // clip if OOB. offset
v_lshrrev_b32 v17, 8, v20                          // vGWTmp = src >> 8
buffer_store_byte v17, v9, s[sgprSrdD:sgprSrdD+3], 0, offen, offset:0 // store D
_v_add_u32 v11, v5, 0                              // coord1 += nColPerLoad
_v_add_u32 v10, v4, 2                              // coord0 += element index of load vector
_v_add_u32 v9, v6, 0                               // offset coord1 += nColPerLoad
v_cmp_lt_u32 s[54:55], v10, s[sgprSizeI]           // coord0 < size0
v_cmp_lt_u32 s[56:57], v11, s[sgprSizeJ]           // coord1 < size1
s_and_b64 s[56:57], s[54:55], s[56:57]             // in0 && in1
v_mul_lo_u32 v9, v9, s[sgprStrideD1J]              // coord1 element offset =  coord1 * StrideD
_v_add_lshl_u32 v9, v9, v10, 0x0                   // scale to BPE
v_cndmask_b32 v9, -1, v9, s[56:57]                 // clip if OOB. offset
buffer_store_byte_d16_hi v20, v9, s[sgprSrdD:sgprSrdD+3], 0, offen, offset:0 // store D
_v_add_u32 v11, v5, 0                              // coord1 += nColPerLoad
_v_add_u32 v10, v4, 3                              // coord0 += element index of load vector
_v_add_u32 v9, v6, 0                               // offset coord1 += nColPerLoad
v_cmp_lt_u32 s[54:55], v10, s[sgprSizeI]           // coord0 < size0
v_cmp_lt_u32 s[56:57], v11, s[sgprSizeJ]           // coord1 < size1
s_and_b64 s[56:57], s[54:55], s[56:57]             // in0 && in1
v_mul_lo_u32 v9, v9, s[sgprStrideD1J]              // coord1 element offset =  coord1 * StrideD
_v_add_lshl_u32 v9, v9, v10, 0x0                   // scale to BPE
v_cndmask_b32 v9, -1, v9, s[56:57]                 // clip if OOB. offset
v_lshrrev_b32 v17, 8, v20                          // vGWTmp = src >> 8
buffer_store_byte_d16_hi v17, v9, s[sgprSrdD:sgprSrdD+3], 0, offen, offset:0 // store D
_v_add_u32 v11, v5, 0                              // coord1 += nColPerLoad
_v_add_u32 v10, v4, 4                              // coord0 += element index of load vector
_v_add_u32 v9, v6, 0                               // offset coord1 += nColPerLoad
v_cmp_lt_u32 s[54:55], v10, s[sgprSizeI]           // coord0 < size0
v_cmp_lt_u32 s[56:57], v11, s[sgprSizeJ]           // coord1 < size1
s_and_b64 s[56:57], s[54:55], s[56:57]             // in0 && in1
v_mul_lo_u32 v9, v9, s[sgprStrideD1J]              // coord1 element offset =  coord1 * StrideD
_v_add_lshl_u32 v9, v9, v10, 0x0                   // scale to BPE
v_cndmask_b32 v9, -1, v9, s[56:57]                 // clip if OOB. offset
buffer_store_byte v21, v9, s[sgprSrdD:sgprSrdD+3], 0, offen, offset:0 // store D
_v_add_u32 v11, v5, 0                              // coord1 += nColPerLoad
_v_add_u32 v10, v4, 5                              // coord0 += element index of load vector
_v_add_u32 v9, v6, 0                               // offset coord1 += nColPerLoad
v_cmp_lt_u32 s[54:55], v10, s[sgprSizeI]           // coord0 < size0
v_cmp_lt_u32 s[56:57], v11, s[sgprSizeJ]           // coord1 < size1
s_and_b64 s[56:57], s[54:55], s[56:57]             // in0 && in1
v_mul_lo_u32 v9, v9, s[sgprStrideD1J]              // coord1 element offset =  coord1 * StrideD
_v_add_lshl_u32 v9, v9, v10, 0x0                   // scale to BPE
v_cndmask_b32 v9, -1, v9, s[56:57]                 // clip if OOB. offset
v_lshrrev_b32 v17, 8, v21                          // vGWTmp = src >> 8
buffer_store_byte v17, v9, s[sgprSrdD:sgprSrdD+3], 0, offen, offset:0 // store D
_v_add_u32 v11, v5, 0                              // coord1 += nColPerLoad
_v_add_u32 v10, v4, 6                              // coord0 += element index of load vector
_v_add_u32 v9, v6, 0                               // offset coord1 += nColPerLoad
v_cmp_lt_u32 s[54:55], v10, s[sgprSizeI]           // coord0 < size0
v_cmp_lt_u32 s[56:57], v11, s[sgprSizeJ]           // coord1 < size1
s_and_b64 s[56:57], s[54:55], s[56:57]             // in0 && in1
v_mul_lo_u32 v9, v9, s[sgprStrideD1J]              // coord1 element offset =  coord1 * StrideD
_v_add_lshl_u32 v9, v9, v10, 0x0                   // scale to BPE
v_cndmask_b32 v9, -1, v9, s[56:57]                 // clip if OOB. offset
buffer_store_byte_d16_hi v21, v9, s[sgprSrdD:sgprSrdD+3], 0, offen, offset:0 // store D
_v_add_u32 v11, v5, 0                              // coord1 += nColPerLoad
_v_add_u32 v10, v4, 7                              // coord0 += element index of load vector
_v_add_u32 v9, v6, 0                               // offset coord1 += nColPerLoad
v_cmp_lt_u32 s[54:55], v10, s[sgprSizeI]           // coord0 < size0
v_cmp_lt_u32 s[56:57], v11, s[sgprSizeJ]           // coord1 < size1
s_and_b64 s[56:57], s[54:55], s[56:57]             // in0 && in1
v_mul_lo_u32 v9, v9, s[sgprStrideD1J]              // coord1 element offset =  coord1 * StrideD
_v_add_lshl_u32 v9, v9, v10, 0x0                   // scale to BPE
v_cndmask_b32 v9, -1, v9, s[56:57]                 // clip if OOB. offset
v_lshrrev_b32 v17, 8, v21                          // vGWTmp = src >> 8
buffer_store_byte_d16_hi v17, v9, s[sgprSrdD:sgprSrdD+3], 0, offen, offset:0 // store D
_v_add_u32 v11, v5, 0                              // coord1 += nColPerLoad
_v_add_u32 v10, v4, 8                              // coord0 += element index of load vector
_v_add_u32 v9, v6, 0                               // offset coord1 += nColPerLoad
v_cmp_lt_u32 s[54:55], v10, s[sgprSizeI]           // coord0 < size0
v_cmp_lt_u32 s[56:57], v11, s[sgprSizeJ]           // coord1 < size1
s_and_b64 s[56:57], s[54:55], s[56:57]             // in0 && in1
v_mul_lo_u32 v9, v9, s[sgprStrideD1J]              // coord1 element offset =  coord1 * StrideD
_v_add_lshl_u32 v9, v9, v10, 0x0                   // scale to BPE
v_cndmask_b32 v9, -1, v9, s[56:57]                 // clip if OOB. offset
buffer_store_byte v22, v9, s[sgprSrdD:sgprSrdD+3], 0, offen, offset:0 // store D
_v_add_u32 v11, v5, 0                              // coord1 += nColPerLoad
_v_add_u32 v10, v4, 9                              // coord0 += element index of load vector
_v_add_u32 v9, v6, 0                               // offset coord1 += nColPerLoad
v_cmp_lt_u32 s[54:55], v10, s[sgprSizeI]           // coord0 < size0
v_cmp_lt_u32 s[56:57], v11, s[sgprSizeJ]           // coord1 < size1
s_and_b64 s[56:57], s[54:55], s[56:57]             // in0 && in1
v_mul_lo_u32 v9, v9, s[sgprStrideD1J]              // coord1 element offset =  coord1 * StrideD
_v_add_lshl_u32 v9, v9, v10, 0x0                   // scale to BPE
v_cndmask_b32 v9, -1, v9, s[56:57]                 // clip if OOB. offset
v_lshrrev_b32 v17, 8, v22                          // vGWTmp = src >> 8
buffer_store_byte v17, v9, s[sgprSrdD:sgprSrdD+3], 0, offen, offset:0 // store D
_v_add_u32 v11, v5, 0                              // coord1 += nColPerLoad
_v_add_u32 v10, v4, 10                             // coord0 += element index of load vector
_v_add_u32 v9, v6, 0                               // offset coord1 += nColPerLoad
v_cmp_lt_u32 s[54:55], v10, s[sgprSizeI]           // coord0 < size0
v_cmp_lt_u32 s[56:57], v11, s[sgprSizeJ]           // coord1 < size1
s_and_b64 s[56:57], s[54:55], s[56:57]             // in0 && in1
v_mul_lo_u32 v9, v9, s[sgprStrideD1J]              // coord1 element offset =  coord1 * StrideD
_v_add_lshl_u32 v9, v9, v10, 0x0                   // scale to BPE
v_cndmask_b32 v9, -1, v9, s[56:57]                 // clip if OOB. offset
buffer_store_byte_d16_hi v22, v9, s[sgprSrdD:sgprSrdD+3], 0, offen, offset:0 // store D
_v_add_u32 v11, v5, 0                              // coord1 += nColPerLoad
_v_add_u32 v10, v4, 11                             // coord0 += element index of load vector
_v_add_u32 v9, v6, 0                               // offset coord1 += nColPerLoad
v_cmp_lt_u32 s[54:55], v10, s[sgprSizeI]           // coord0 < size0
v_cmp_lt_u32 s[56:57], v11, s[sgprSizeJ]           // coord1 < size1
s_and_b64 s[56:57], s[54:55], s[56:57]             // in0 && in1
v_mul_lo_u32 v9, v9, s[sgprStrideD1J]              // coord1 element offset =  coord1 * StrideD
_v_add_lshl_u32 v9, v9, v10, 0x0                   // scale to BPE
v_cndmask_b32 v9, -1, v9, s[56:57]                 // clip if OOB. offset
v_lshrrev_b32 v17, 8, v22                          // vGWTmp = src >> 8
buffer_store_byte_d16_hi v17, v9, s[sgprSrdD:sgprSrdD+3], 0, offen, offset:0 // store D
_v_add_u32 v11, v5, 0                              // coord1 += nColPerLoad
_v_add_u32 v10, v4, 12                             // coord0 += element index of load vector
_v_add_u32 v9, v6, 0                               // offset coord1 += nColPerLoad
v_cmp_lt_u32 s[54:55], v10, s[sgprSizeI]           // coord0 < size0
v_cmp_lt_u32 s[56:57], v11, s[sgprSizeJ]           // coord1 < size1
s_and_b64 s[56:57], s[54:55], s[56:57]             // in0 && in1
v_mul_lo_u32 v9, v9, s[sgprStrideD1J]              // coord1 element offset =  coord1 * StrideD
_v_add_lshl_u32 v9, v9, v10, 0x0                   // scale to BPE
v_cndmask_b32 v9, -1, v9, s[56:57]                 // clip if OOB. offset
buffer_store_byte v23, v9, s[sgprSrdD:sgprSrdD+3], 0, offen, offset:0 // store D
_v_add_u32 v11, v5, 0                              // coord1 += nColPerLoad
_v_add_u32 v10, v4, 13                             // coord0 += element index of load vector
_v_add_u32 v9, v6, 0                               // offset coord1 += nColPerLoad
v_cmp_lt_u32 s[54:55], v10, s[sgprSizeI]           // coord0 < size0
v_cmp_lt_u32 s[56:57], v11, s[sgprSizeJ]           // coord1 < size1
s_and_b64 s[56:57], s[54:55], s[56:57]             // in0 && in1
v_mul_lo_u32 v9, v9, s[sgprStrideD1J]              // coord1 element offset =  coord1 * StrideD
_v_add_lshl_u32 v9, v9, v10, 0x0                   // scale to BPE
v_cndmask_b32 v9, -1, v9, s[56:57]                 // clip if OOB. offset
v_lshrrev_b32 v17, 8, v23                          // vGWTmp = src >> 8
buffer_store_byte v17, v9, s[sgprSrdD:sgprSrdD+3], 0, offen, offset:0 // store D
_v_add_u32 v11, v5, 0                              // coord1 += nColPerLoad
_v_add_u32 v10, v4, 14                             // coord0 += element index of load vector
_v_add_u32 v9, v6, 0                               // offset coord1 += nColPerLoad
v_cmp_lt_u32 s[54:55], v10, s[sgprSizeI]           // coord0 < size0
v_cmp_lt_u32 s[56:57], v11, s[sgprSizeJ]           // coord1 < size1
s_and_b64 s[56:57], s[54:55], s[56:57]             // in0 && in1
v_mul_lo_u32 v9, v9, s[sgprStrideD1J]              // coord1 element offset =  coord1 * StrideD
_v_add_lshl_u32 v9, v9, v10, 0x0                   // scale to BPE
v_cndmask_b32 v9, -1, v9, s[56:57]                 // clip if OOB. offset
buffer_store_byte_d16_hi v23, v9, s[sgprSrdD:sgprSrdD+3], 0, offen, offset:0 // store D
_v_add_u32 v11, v5, 0                              // coord1 += nColPerLoad
_v_add_u32 v10, v4, 15                             // coord0 += element index of load vector
_v_add_u32 v9, v6, 0                               // offset coord1 += nColPerLoad
v_cmp_lt_u32 s[54:55], v10, s[sgprSizeI]           // coord0 < size0
v_cmp_lt_u32 s[56:57], v11, s[sgprSizeJ]           // coord1 < size1
s_and_b64 s[56:57], s[54:55], s[56:57]             // in0 && in1
v_mul_lo_u32 v9, v9, s[sgprStrideD1J]              // coord1 element offset =  coord1 * StrideD
_v_add_lshl_u32 v9, v9, v10, 0x0                   // scale to BPE
v_cndmask_b32 v9, -1, v9, s[56:57]                 // clip if OOB. offset
v_lshrrev_b32 v17, 8, v23                          // vGWTmp = src >> 8
buffer_store_byte_d16_hi v17, v9, s[sgprSrdD:sgprSrdD+3], 0, offen, offset:0 // store D
s_waitcnt lgkmcnt(0)                               // wait for LDS read
_v_add_u32 v11, v5, 4                              // coord1 += nColPerLoad
_v_add_u32 v10, v4, 0                              // coord0 += element index of load vector
_v_add_u32 v9, v6, 4                               // offset coord1 += nColPerLoad
v_cmp_lt_u32 s[54:55], v10, s[sgprSizeI]           // coord0 < size0
v_cmp_lt_u32 s[56:57], v11, s[sgprSizeJ]           // coord1 < size1
s_and_b64 s[56:57], s[54:55], s[56:57]             // in0 && in1
v_mul_lo_u32 v9, v9, s[sgprStrideD1J]              // coord1 element offset =  coord1 * StrideD
_v_add_lshl_u32 v9, v9, v10, 0x0                   // scale to BPE
v_cndmask_b32 v9, -1, v9, s[56:57]                 // clip if OOB. offset
buffer_store_byte v24, v9, s[sgprSrdD:sgprSrdD+3], 0, offen, offset:0 // store D
_v_add_u32 v11, v5, 4                              // coord1 += nColPerLoad
_v_add_u32 v10, v4, 1                              // coord0 += element index of load vector
_v_add_u32 v9, v6, 4                               // offset coord1 += nColPerLoad
v_cmp_lt_u32 s[54:55], v10, s[sgprSizeI]           // coord0 < size0
v_cmp_lt_u32 s[56:57], v11, s[sgprSizeJ]           // coord1 < size1
s_and_b64 s[56:57], s[54:55], s[56:57]             // in0 && in1
v_mul_lo_u32 v9, v9, s[sgprStrideD1J]              // coord1 element offset =  coord1 * StrideD
_v_add_lshl_u32 v9, v9, v10, 0x0                   // scale to BPE
v_cndmask_b32 v9, -1, v9, s[56:57]                 // clip if OOB. offset
v_lshrrev_b32 v17, 8, v24                          // vGWTmp = src >> 8
buffer_store_byte v17, v9, s[sgprSrdD:sgprSrdD+3], 0, offen, offset:0 // store D
_v_add_u32 v11, v5, 4                              // coord1 += nColPerLoad
_v_add_u32 v10, v4, 2                              // coord0 += element index of load vector
_v_add_u32 v9, v6, 4                               // offset coord1 += nColPerLoad
v_cmp_lt_u32 s[54:55], v10, s[sgprSizeI]           // coord0 < size0
v_cmp_lt_u32 s[56:57], v11, s[sgprSizeJ]           // coord1 < size1
s_and_b64 s[56:57], s[54:55], s[56:57]             // in0 && in1
v_mul_lo_u32 v9, v9, s[sgprStrideD1J]              // coord1 element offset =  coord1 * StrideD
_v_add_lshl_u32 v9, v9, v10, 0x0                   // scale to BPE
v_cndmask_b32 v9, -1, v9, s[56:57]                 // clip if OOB. offset
buffer_store_byte_d16_hi v24, v9, s[sgprSrdD:sgprSrdD+3], 0, offen, offset:0 // store D
_v_add_u32 v11, v5, 4                              // coord1 += nColPerLoad
_v_add_u32 v10, v4, 3                              // coord0 += element index of load vector
_v_add_u32 v9, v6, 4                               // offset coord1 += nColPerLoad
v_cmp_lt_u32 s[54:55], v10, s[sgprSizeI]           // coord0 < size0
v_cmp_lt_u32 s[56:57], v11, s[sgprSizeJ]           // coord1 < size1
s_and_b64 s[56:57], s[54:55], s[56:57]             // in0 && in1
v_mul_lo_u32 v9, v9, s[sgprStrideD1J]              // coord1 element offset =  coord1 * StrideD
_v_add_lshl_u32 v9, v9, v10, 0x0                   // scale to BPE
v_cndmask_b32 v9, -1, v9, s[56:57]                 // clip if OOB. offset
v_lshrrev_b32 v17, 8, v24                          // vGWTmp = src >> 8
buffer_store_byte_d16_hi v17, v9, s[sgprSrdD:sgprSrdD+3], 0, offen, offset:0 // store D
_v_add_u32 v11, v5, 4                              // coord1 += nColPerLoad
_v_add_u32 v10, v4, 4                              // coord0 += element index of load vector
_v_add_u32 v9, v6, 4                               // offset coord1 += nColPerLoad
v_cmp_lt_u32 s[54:55], v10, s[sgprSizeI]           // coord0 < size0
v_cmp_lt_u32 s[56:57], v11, s[sgprSizeJ]           // coord1 < size1
s_and_b64 s[56:57], s[54:55], s[56:57]             // in0 && in1
v_mul_lo_u32 v9, v9, s[sgprStrideD1J]              // coord1 element offset =  coord1 * StrideD
_v_add_lshl_u32 v9, v9, v10, 0x0                   // scale to BPE
v_cndmask_b32 v9, -1, v9, s[56:57]                 // clip if OOB. offset
buffer_store_byte v25, v9, s[sgprSrdD:sgprSrdD+3], 0, offen, offset:0 // store D
_v_add_u32 v11, v5, 4                              // coord1 += nColPerLoad
_v_add_u32 v10, v4, 5                              // coord0 += element index of load vector
_v_add_u32 v9, v6, 4                               // offset coord1 += nColPerLoad
v_cmp_lt_u32 s[54:55], v10, s[sgprSizeI]           // coord0 < size0
v_cmp_lt_u32 s[56:57], v11, s[sgprSizeJ]           // coord1 < size1
s_and_b64 s[56:57], s[54:55], s[56:57]             // in0 && in1
v_mul_lo_u32 v9, v9, s[sgprStrideD1J]              // coord1 element offset =  coord1 * StrideD
_v_add_lshl_u32 v9, v9, v10, 0x0                   // scale to BPE
v_cndmask_b32 v9, -1, v9, s[56:57]                 // clip if OOB. offset
v_lshrrev_b32 v17, 8, v25                          // vGWTmp = src >> 8
buffer_store_byte v17, v9, s[sgprSrdD:sgprSrdD+3], 0, offen, offset:0 // store D
_v_add_u32 v11, v5, 4                              // coord1 += nColPerLoad
_v_add_u32 v10, v4, 6                              // coord0 += element index of load vector
_v_add_u32 v9, v6, 4                               // offset coord1 += nColPerLoad
v_cmp_lt_u32 s[54:55], v10, s[sgprSizeI]           // coord0 < size0
v_cmp_lt_u32 s[56:57], v11, s[sgprSizeJ]           // coord1 < size1
s_and_b64 s[56:57], s[54:55], s[56:57]             // in0 && in1
v_mul_lo_u32 v9, v9, s[sgprStrideD1J]              // coord1 element offset =  coord1 * StrideD
_v_add_lshl_u32 v9, v9, v10, 0x0                   // scale to BPE
v_cndmask_b32 v9, -1, v9, s[56:57]                 // clip if OOB. offset
buffer_store_byte_d16_hi v25, v9, s[sgprSrdD:sgprSrdD+3], 0, offen, offset:0 // store D
_v_add_u32 v11, v5, 4                              // coord1 += nColPerLoad
_v_add_u32 v10, v4, 7                              // coord0 += element index of load vector
_v_add_u32 v9, v6, 4                               // offset coord1 += nColPerLoad
v_cmp_lt_u32 s[54:55], v10, s[sgprSizeI]           // coord0 < size0
v_cmp_lt_u32 s[56:57], v11, s[sgprSizeJ]           // coord1 < size1
s_and_b64 s[56:57], s[54:55], s[56:57]             // in0 && in1
v_mul_lo_u32 v9, v9, s[sgprStrideD1J]              // coord1 element offset =  coord1 * StrideD
_v_add_lshl_u32 v9, v9, v10, 0x0                   // scale to BPE
v_cndmask_b32 v9, -1, v9, s[56:57]                 // clip if OOB. offset
v_lshrrev_b32 v17, 8, v25                          // vGWTmp = src >> 8
buffer_store_byte_d16_hi v17, v9, s[sgprSrdD:sgprSrdD+3], 0, offen, offset:0 // store D
_v_add_u32 v11, v5, 4                              // coord1 += nColPerLoad
_v_add_u32 v10, v4, 8                              // coord0 += element index of load vector
_v_add_u32 v9, v6, 4                               // offset coord1 += nColPerLoad
v_cmp_lt_u32 s[54:55], v10, s[sgprSizeI]           // coord0 < size0
v_cmp_lt_u32 s[56:57], v11, s[sgprSizeJ]           // coord1 < size1
s_and_b64 s[56:57], s[54:55], s[56:57]             // in0 && in1
v_mul_lo_u32 v9, v9, s[sgprStrideD1J]              // coord1 element offset =  coord1 * StrideD
_v_add_lshl_u32 v9, v9, v10, 0x0                   // scale to BPE
v_cndmask_b32 v9, -1, v9, s[56:57]                 // clip if OOB. offset
buffer_store_byte v26, v9, s[sgprSrdD:sgprSrdD+3], 0, offen, offset:0 // store D
_v_add_u32 v11, v5, 4                              // coord1 += nColPerLoad
_v_add_u32 v10, v4, 9                              // coord0 += element index of load vector
_v_add_u32 v9, v6, 4                               // offset coord1 += nColPerLoad
v_cmp_lt_u32 s[54:55], v10, s[sgprSizeI]           // coord0 < size0
v_cmp_lt_u32 s[56:57], v11, s[sgprSizeJ]           // coord1 < size1
s_and_b64 s[56:57], s[54:55], s[56:57]             // in0 && in1
v_mul_lo_u32 v9, v9, s[sgprStrideD1J]              // coord1 element offset =  coord1 * StrideD
_v_add_lshl_u32 v9, v9, v10, 0x0                   // scale to BPE
v_cndmask_b32 v9, -1, v9, s[56:57]                 // clip if OOB. offset
v_lshrrev_b32 v17, 8, v26                          // vGWTmp = src >> 8
buffer_store_byte v17, v9, s[sgprSrdD:sgprSrdD+3], 0, offen, offset:0 // store D
_v_add_u32 v11, v5, 4                              // coord1 += nColPerLoad
_v_add_u32 v10, v4, 10                             // coord0 += element index of load vector
_v_add_u32 v9, v6, 4                               // offset coord1 += nColPerLoad
v_cmp_lt_u32 s[54:55], v10, s[sgprSizeI]           // coord0 < size0
v_cmp_lt_u32 s[56:57], v11, s[sgprSizeJ]           // coord1 < size1
s_and_b64 s[56:57], s[54:55], s[56:57]             // in0 && in1
v_mul_lo_u32 v9, v9, s[sgprStrideD1J]              // coord1 element offset =  coord1 * StrideD
_v_add_lshl_u32 v9, v9, v10, 0x0                   // scale to BPE
v_cndmask_b32 v9, -1, v9, s[56:57]                 // clip if OOB. offset
buffer_store_byte_d16_hi v26, v9, s[sgprSrdD:sgprSrdD+3], 0, offen, offset:0 // store D
_v_add_u32 v11, v5, 4                              // coord1 += nColPerLoad
_v_add_u32 v10, v4, 11                             // coord0 += element index of load vector
_v_add_u32 v9, v6, 4                               // offset coord1 += nColPerLoad
v_cmp_lt_u32 s[54:55], v10, s[sgprSizeI]           // coord0 < size0
v_cmp_lt_u32 s[56:57], v11, s[sgprSizeJ]           // coord1 < size1
s_and_b64 s[56:57], s[54:55], s[56:57]             // in0 && in1
v_mul_lo_u32 v9, v9, s[sgprStrideD1J]              // coord1 element offset =  coord1 * StrideD
_v_add_lshl_u32 v9, v9, v10, 0x0                   // scale to BPE
v_cndmask_b32 v9, -1, v9, s[56:57]                 // clip if OOB. offset
v_lshrrev_b32 v17, 8, v26                          // vGWTmp = src >> 8
buffer_store_byte_d16_hi v17, v9, s[sgprSrdD:sgprSrdD+3], 0, offen, offset:0 // store D
_v_add_u32 v11, v5, 4                              // coord1 += nColPerLoad
_v_add_u32 v10, v4, 12                             // coord0 += element index of load vector
_v_add_u32 v9, v6, 4                               // offset coord1 += nColPerLoad
v_cmp_lt_u32 s[54:55], v10, s[sgprSizeI]           // coord0 < size0
v_cmp_lt_u32 s[56:57], v11, s[sgprSizeJ]           // coord1 < size1
s_and_b64 s[56:57], s[54:55], s[56:57]             // in0 && in1
v_mul_lo_u32 v9, v9, s[sgprStrideD1J]              // coord1 element offset =  coord1 * StrideD
_v_add_lshl_u32 v9, v9, v10, 0x0                   // scale to BPE
v_cndmask_b32 v9, -1, v9, s[56:57]                 // clip if OOB. offset
buffer_store_byte v27, v9, s[sgprSrdD:sgprSrdD+3], 0, offen, offset:0 // store D
_v_add_u32 v11, v5, 4                              // coord1 += nColPerLoad
_v_add_u32 v10, v4, 13                             // coord0 += element index of load vector
_v_add_u32 v9, v6, 4                               // offset coord1 += nColPerLoad
v_cmp_lt_u32 s[54:55], v10, s[sgprSizeI]           // coord0 < size0
v_cmp_lt_u32 s[56:57], v11, s[sgprSizeJ]           // coord1 < size1
s_and_b64 s[56:57], s[54:55], s[56:57]             // in0 && in1
v_mul_lo_u32 v9, v9, s[sgprStrideD1J]              // coord1 element offset =  coord1 * StrideD
_v_add_lshl_u32 v9, v9, v10, 0x0                   // scale to BPE
v_cndmask_b32 v9, -1, v9, s[56:57]                 // clip if OOB. offset
v_lshrrev_b32 v17, 8, v27                          // vGWTmp = src >> 8
buffer_store_byte v17, v9, s[sgprSrdD:sgprSrdD+3], 0, offen, offset:0 // store D
_v_add_u32 v11, v5, 4                              // coord1 += nColPerLoad
_v_add_u32 v10, v4, 14                             // coord0 += element index of load vector
_v_add_u32 v9, v6, 4                               // offset coord1 += nColPerLoad
v_cmp_lt_u32 s[54:55], v10, s[sgprSizeI]           // coord0 < size0
v_cmp_lt_u32 s[56:57], v11, s[sgprSizeJ]           // coord1 < size1
s_and_b64 s[56:57], s[54:55], s[56:57]             // in0 && in1
v_mul_lo_u32 v9, v9, s[sgprStrideD1J]              // coord1 element offset =  coord1 * StrideD
_v_add_lshl_u32 v9, v9, v10, 0x0                   // scale to BPE
v_cndmask_b32 v9, -1, v9, s[56:57]                 // clip if OOB. offset
buffer_store_byte_d16_hi v27, v9, s[sgprSrdD:sgprSrdD+3], 0, offen, offset:0 // store D
_v_add_u32 v11, v5, 4                              // coord1 += nColPerLoad
_v_add_u32 v10, v4, 15                             // coord0 += element index of load vector
_v_add_u32 v9, v6, 4                               // offset coord1 += nColPerLoad
v_cmp_lt_u32 s[54:55], v10, s[sgprSizeI]           // coord0 < size0
v_cmp_lt_u32 s[56:57], v11, s[sgprSizeJ]           // coord1 < size1
s_and_b64 s[56:57], s[54:55], s[56:57]             // in0 && in1
v_mul_lo_u32 v9, v9, s[sgprStrideD1J]              // coord1 element offset =  coord1 * StrideD
_v_add_lshl_u32 v9, v9, v10, 0x0                   // scale to BPE
v_cndmask_b32 v9, -1, v9, s[56:57]                 // clip if OOB. offset
v_lshrrev_b32 v17, 8, v27                          // vGWTmp = src >> 8
buffer_store_byte_d16_hi v17, v9, s[sgprSrdD:sgprSrdD+3], 0, offen, offset:0 // store D

s_barrier //wait all lds read finished
s_nop 0                                            // 1 wait state required when next inst writes vgprs held by previous dwordx4 store inst
/* optSingleColVgpr=0 optSharedColVgpr=0 optSGPRUsage=BufferLoad_Edge_Mask optSrdIncForRow=1 */

/******************************************/
/* Global Write Alpha Beta Edge Batch #16 (d1,d0,vc1,vc0) = */
/*    (4,0,0,0:vw1); (4,0,0,1:vw1); (4,0,0,2:vw1); (4,0,0,3:vw1); (4,1,0,0:vw1); (4,1,0,1:vw1); (4,1,0,2:vw1); (4,1,0,3:vw1) */
/******************************************/

/* calc coords, apply mask, and issue loads (if necessary) */
/* (d1,vc1,d0,vc0)=(4,0,0,0) */
_v_add_co_u32 v1, vcc, v1, 32                      // coord1.1: coord1Vgpr += d1*sg1*VW + vc1
v_cmp_lt_u32 s[54:55], v0, s[sgprSizeI]            // coord0 < size0
v_cmp_lt_u32 s[58:59], v1, s[sgprSizeJ]            // coord1 < size1
s_and_b64 s[58:59], s[54:55], s[58:59]             // in0 && in1
_v_add_lshl_u32 v9, v2, v0, 0x0                    // scaleToBpe: accumulate d0 lower and *= bpe into Cin addr
v_cndmask_b32 v9, -1, v9, s[58:59]                 // LDC clip if OOB. offset
s_mul_i32 s54, s[sgprStrideC1J], 32                // scale StrideC *= numRows(32) * bpe
s_add_u32  s[sgprSrdC+0], s[sgprSrdC+0], s54       // incToNextRow: gra SRD += inc(lower)
s_addc_u32  s[sgprSrdC+1], s[sgprSrdC+1], 0        // incToNextRow: gra SRD += inc(upper)
buffer_load_ubyte v17, v9, s[sgprSrdC:sgprSrdC+3], 0, offen offset:0 // load C for beta calc
_v_add_lshl_u32 v9, v3, v0, 0x0                    // scaleToBpe: accumulate d0 lower and *= bpe into Cin addr
v_cndmask_b32 v9, -1, v9, s[58:59]                 // LDD clip if OOB. offset
/* (d1,vc1,d0,vc0)=(4,0,0,1) */
_v_add_co_u32 v10, vcc, v0, 1                      // coord0.1: coord0 += d0*sg0*VW + vc0
v_cmp_lt_u32 s[54:55], v10, s[sgprSizeI]           // coord0 < size0
v_cmp_lt_u32 s[58:59], v1, s[sgprSizeJ]            // coord1 < size1
s_and_b64 s[58:59], s[54:55], s[58:59]             // in0 && in1
_v_add_lshl_u32 v19, v2, v10, 0x0                  // scaleToBpe: accumulate d0 lower and *= bpe into Cin addr
v_cndmask_b32 v19, -1, v19, s[58:59]               // LDC clip if OOB. offset
buffer_load_ubyte v20, v19, s[sgprSrdC:sgprSrdC+3], 0, offen offset:0 // load C for beta calc
_v_add_lshl_u32 v19, v3, v10, 0x0                  // scaleToBpe: accumulate d0 lower and *= bpe into Cin addr
v_cndmask_b32 v19, -1, v19, s[58:59]               // LDD clip if OOB. offset
/* (d1,vc1,d0,vc0)=(4,0,0,2) */
_v_add_co_u32 v10, vcc, v0, 2                      // coord0.1: coord0 += d0*sg0*VW + vc0
v_cmp_lt_u32 s[54:55], v10, s[sgprSizeI]           // coord0 < size0
v_cmp_lt_u32 s[58:59], v1, s[sgprSizeJ]            // coord1 < size1
s_and_b64 s[58:59], s[54:55], s[58:59]             // in0 && in1
_v_add_lshl_u32 v22, v2, v10, 0x0                  // scaleToBpe: accumulate d0 lower and *= bpe into Cin addr
v_cndmask_b32 v22, -1, v22, s[58:59]               // LDC clip if OOB. offset
buffer_load_ubyte v23, v22, s[sgprSrdC:sgprSrdC+3], 0, offen offset:0 // load C for beta calc
_v_add_lshl_u32 v22, v3, v10, 0x0                  // scaleToBpe: accumulate d0 lower and *= bpe into Cin addr
v_cndmask_b32 v22, -1, v22, s[58:59]               // LDD clip if OOB. offset
	;; [unrolled: 10-line block ×5, first 2 shown]
/* (d1,vc1,d0,vc0)=(4,0,1,2) */
_v_add_co_u32 v10, vcc, v0, 10                     // coord0.1: coord0 += d0*sg0*VW + vc0
v_cmp_lt_u32 s[54:55], v10, s[sgprSizeI]           // coord0 < size0
v_cmp_lt_u32 s[58:59], v1, s[sgprSizeJ]            // coord1 < size1
s_and_b64 s[58:59], s[54:55], s[58:59]             // in0 && in1
_v_add_lshl_u32 v34, v2, v10, 0x0                  // scaleToBpe: accumulate d0 lower and *= bpe into Cin addr
v_cndmask_b32 v34, -1, v34, s[58:59]               // LDC clip if OOB. offset
buffer_load_ubyte v35, v34, s[sgprSrdC:sgprSrdC+3], 0, offen offset:0 // load C for beta calc
_v_add_lshl_u32 v34, v3, v10, 0x0                  // scaleToBpe: accumulate d0 lower and *= bpe into Cin addr
v_cndmask_b32 v34, -1, v34, s[58:59]               // LDD clip if OOB. offset
/* (d1,vc1,d0,vc0)=(4,0,1,3) */
_v_add_co_u32 v10, vcc, v0, 11                     // coord0.1: coord0 += d0*sg0*VW + vc0
v_cmp_lt_u32 s[54:55], v10, s[sgprSizeI]           // coord0 < size0
v_cmp_lt_u32 s[58:59], v1, s[sgprSizeJ]            // coord1 < size1
s_and_b64 s[58:59], s[54:55], s[58:59]             // in0 && in1
_v_add_lshl_u32 v37, v2, v10, 0x0                  // scaleToBpe: accumulate d0 lower and *= bpe into Cin addr
v_cndmask_b32 v37, -1, v37, s[58:59]               // LDC clip if OOB. offset
buffer_load_ubyte v38, v37, s[sgprSrdC:sgprSrdC+3], 0, offen offset:0 // load C for beta calc
_v_add_lshl_u32 v37, v3, v10, 0x0                  // scaleToBpe: accumulate d0 lower and *= bpe into Cin addr
v_cndmask_b32 v37, -1, v37, s[58:59]               // LDD clip if OOB. offset
v_accvgpr_read_b32 v[vgprValuC+18], acc128 // copy acc to vreg[128]
v_accvgpr_read_b32 v[vgprValuC+21], acc129 // copy acc to vreg[129]
v_accvgpr_read_b32 v[vgprValuC+24], acc130 // copy acc to vreg[130]
v_accvgpr_read_b32 v[vgprValuC+27], acc131 // copy acc to vreg[131]
v_accvgpr_read_b32 v[vgprValuC+30], acc132 // copy acc to vreg[132]
v_accvgpr_read_b32 v[vgprValuC+33], acc133 // copy acc to vreg[133]
v_accvgpr_read_b32 v[vgprValuC+36], acc134 // copy acc to vreg[134]
v_accvgpr_read_b32 v[vgprValuC+39], acc135 // copy acc to vreg[135]
s_nop 1                                            // 2 wait states required before reading vgpr

/* rC *= alpha batchElements=[(4, 0, 0, 0), (4, 0, 0, 1), (4, 0, 0, 2), (4, 0, 0, 3), (4, 1, 0, 0), (4, 1, 0, 1), (4, 1, 0, 2), (4, 1, 0, 3)] */
v_mul_f32 v[vgprValuC+18], s[sgprAlpha], v[vgprValuC+18] // *= alpha
v_mul_f32 v[vgprValuC+21], s[sgprAlpha], v[vgprValuC+21] // *= alpha
	;; [unrolled: 1-line block ×8, first 2 shown]
s_waitcnt vmcnt(0)                                 // wait C

/* apply mask, calc new C and issue writes */
v_mov_b32 v16, 0x207                               // flag for Nan and +/- inf
v_mov_b32 v14, 0x43700000                          // save 240.0f as max for clipping
v_mov_b32 v15, 0xC3700000                          // save -240.0f as min for clipping

/* StoreRemap: shift coord1 address */
s_mul_i32 s54, s[sgprStrideD1J], 32                // scale StrideD *= numRows(32) * bpe
s_add_u32  s[sgprSrdD+0], s[sgprSrdD+0], s54       // incToNextRow: gra SRD += inc(lower)
s_addc_u32  s[sgprSrdD+1], s[sgprSrdD+1], 0        // incToNextRow: gra SRD += inc(upper)
v_mov_b32 v10, 32                                  // set shift rows
_v_add_u32 v5, v5, v10                             // shift storeRemap coord1
v_cvt_f32_fp8 v12, v17 src0_sel:BYTE_0   // convert fp8 in lo_byte[0] to f32
_v_mac_f32 v[vgprValuC+18], v12, s[sgprBeta]       // finalSum = sum*alpha + C*beta
v_cmp_class_f32 s[54:55], v[vgprValuC+18], v16     // check NaN and +/-INF
v_med3_f32 v12, v[vgprValuC+18], v14, v15          // Clipping f32 value if exceeds the limit
v_cndmask_b32 v12, v12, v[vgprValuC+18], s[54:55]  // 
v_cvt_pk_fp8_f32  v18, v12, v12                    // convert f32 accumulated values to fp8
ds_write_b8 v7, v18, offset:0                      // storeRemap lw
v_cvt_f32_fp8 v12, v20 src0_sel:BYTE_0   // convert fp8 in lo_byte[0] to f32
_v_mac_f32 v[vgprValuC+21], v12, s[sgprBeta]       // finalSum = sum*alpha + C*beta
v_cmp_class_f32 s[54:55], v[vgprValuC+21], v16     // check NaN and +/-INF
v_med3_f32 v12, v[vgprValuC+21], v14, v15          // Clipping f32 value if exceeds the limit
v_cndmask_b32 v12, v12, v[vgprValuC+21], s[54:55]  // 
v_cvt_pk_fp8_f32  v21, v12, v12                    // convert f32 accumulated values to fp8
ds_write_b8 v7, v21, offset:1                      // storeRemap lw
	;; [unrolled: 7-line block ×6, first 2 shown]
v_cvt_f32_fp8 v12, v35 src0_sel:BYTE_0   // convert fp8 in lo_byte[0] to f32
_v_mac_f32 v[vgprValuC+36], v12, s[sgprBeta]       // finalSum = sum*alpha + C*beta
v_cmp_class_f32 s[54:55], v[vgprValuC+36], v16     // check NaN and +/-INF
v_med3_f32 v12, v[vgprValuC+36], v14, v15          // Clipping f32 value if exceeds the limit
v_cndmask_b32 v12, v12, v[vgprValuC+36], s[54:55]  // 
v_cvt_pk_fp8_f32  v36, v12, v12                    // convert f32 accumulated values to fp8
ds_write_b8 v7, v36, offset:10                     // storeRemap lw
v_cvt_f32_fp8 v12, v38 src0_sel:BYTE_0   // convert fp8 in lo_byte[0] to f32
_v_mac_f32 v[vgprValuC+39], v12, s[sgprBeta]       // finalSum = sum*alpha + C*beta
v_cmp_class_f32 s[54:55], v[vgprValuC+39], v16     // check NaN and +/-INF
v_med3_f32 v12, v[vgprValuC+39], v14, v15          // Clipping f32 value if exceeds the limit
v_cndmask_b32 v12, v12, v[vgprValuC+39], s[54:55]  // 
v_cvt_pk_fp8_f32  v39, v12, v12                    // convert f32 accumulated values to fp8
ds_write_b8 v7, v39, offset:11                     // storeRemap lw
s_nop 0                                            // 1 wait state required when next inst writes vgprs held by previous dwordx4 store inst
/* optSingleColVgpr=0 optSharedColVgpr=0 optSGPRUsage=BufferLoad_Edge_Mask optSrdIncForRow=1 */

/******************************************/
/* Global Write Alpha Beta Edge Batch #17 (d1,d0,vc1,vc0) = */
/*    (4,2,0,0:vw1); (4,2,0,1:vw1); (4,2,0,2:vw1); (4,2,0,3:vw1); (4,3,0,0:vw1); (4,3,0,1:vw1); (4,3,0,2:vw1); (4,3,0,3:vw1) */
/******************************************/

/* calc coords, apply mask, and issue loads (if necessary) */
/* (d1,vc1,d0,vc0)=(4,0,2,0) */
_v_add_co_u32 v10, vcc, v0, 16                     // coord0.1: coord0 += d0*sg0*VW + vc0
v_cmp_lt_u32 s[54:55], v10, s[sgprSizeI]           // coord0 < size0
v_cmp_lt_u32 s[58:59], v1, s[sgprSizeJ]            // coord1 < size1
s_and_b64 s[58:59], s[54:55], s[58:59]             // in0 && in1
_v_add_lshl_u32 v9, v2, v10, 0x0                   // scaleToBpe: accumulate d0 lower and *= bpe into Cin addr
v_cndmask_b32 v9, -1, v9, s[58:59]                 // LDC clip if OOB. offset
buffer_load_ubyte v17, v9, s[sgprSrdC:sgprSrdC+3], 0, offen offset:0 // load C for beta calc
_v_add_lshl_u32 v9, v3, v10, 0x0                   // scaleToBpe: accumulate d0 lower and *= bpe into Cin addr
v_cndmask_b32 v9, -1, v9, s[58:59]                 // LDD clip if OOB. offset
/* (d1,vc1,d0,vc0)=(4,0,2,1) */
_v_add_co_u32 v10, vcc, v0, 17                     // coord0.1: coord0 += d0*sg0*VW + vc0
v_cmp_lt_u32 s[54:55], v10, s[sgprSizeI]           // coord0 < size0
v_cmp_lt_u32 s[58:59], v1, s[sgprSizeJ]            // coord1 < size1
s_and_b64 s[58:59], s[54:55], s[58:59]             // in0 && in1
_v_add_lshl_u32 v19, v2, v10, 0x0                  // scaleToBpe: accumulate d0 lower and *= bpe into Cin addr
v_cndmask_b32 v19, -1, v19, s[58:59]               // LDC clip if OOB. offset
buffer_load_ubyte v20, v19, s[sgprSrdC:sgprSrdC+3], 0, offen offset:0 // load C for beta calc
_v_add_lshl_u32 v19, v3, v10, 0x0                  // scaleToBpe: accumulate d0 lower and *= bpe into Cin addr
v_cndmask_b32 v19, -1, v19, s[58:59]               // LDD clip if OOB. offset
/* (d1,vc1,d0,vc0)=(4,0,2,2) */
_v_add_co_u32 v10, vcc, v0, 18                     // coord0.1: coord0 += d0*sg0*VW + vc0
v_cmp_lt_u32 s[54:55], v10, s[sgprSizeI]           // coord0 < size0
v_cmp_lt_u32 s[58:59], v1, s[sgprSizeJ]            // coord1 < size1
s_and_b64 s[58:59], s[54:55], s[58:59]             // in0 && in1
_v_add_lshl_u32 v22, v2, v10, 0x0                  // scaleToBpe: accumulate d0 lower and *= bpe into Cin addr
v_cndmask_b32 v22, -1, v22, s[58:59]               // LDC clip if OOB. offset
buffer_load_ubyte v23, v22, s[sgprSrdC:sgprSrdC+3], 0, offen offset:0 // load C for beta calc
_v_add_lshl_u32 v22, v3, v10, 0x0                  // scaleToBpe: accumulate d0 lower and *= bpe into Cin addr
v_cndmask_b32 v22, -1, v22, s[58:59]               // LDD clip if OOB. offset
	;; [unrolled: 10-line block ×7, first 2 shown]
v_accvgpr_read_b32 v[vgprValuC+18], acc136 // copy acc to vreg[136]
v_accvgpr_read_b32 v[vgprValuC+21], acc137 // copy acc to vreg[137]
v_accvgpr_read_b32 v[vgprValuC+24], acc138 // copy acc to vreg[138]
v_accvgpr_read_b32 v[vgprValuC+27], acc139 // copy acc to vreg[139]
v_accvgpr_read_b32 v[vgprValuC+30], acc140 // copy acc to vreg[140]
v_accvgpr_read_b32 v[vgprValuC+33], acc141 // copy acc to vreg[141]
v_accvgpr_read_b32 v[vgprValuC+36], acc142 // copy acc to vreg[142]
v_accvgpr_read_b32 v[vgprValuC+39], acc143 // copy acc to vreg[143]
s_nop 1                                            // 2 wait states required before reading vgpr

/* rC *= alpha batchElements=[(4, 2, 0, 0), (4, 2, 0, 1), (4, 2, 0, 2), (4, 2, 0, 3), (4, 3, 0, 0), (4, 3, 0, 1), (4, 3, 0, 2), (4, 3, 0, 3)] */
v_mul_f32 v[vgprValuC+18], s[sgprAlpha], v[vgprValuC+18] // *= alpha
v_mul_f32 v[vgprValuC+21], s[sgprAlpha], v[vgprValuC+21] // *= alpha
	;; [unrolled: 1-line block ×8, first 2 shown]
s_waitcnt vmcnt(0)                                 // wait C

/* apply mask, calc new C and issue writes */
v_mov_b32 v16, 0x207                               // flag for Nan and +/- inf
v_mov_b32 v14, 0x43700000                          // save 240.0f as max for clipping
v_mov_b32 v15, 0xC3700000                          // save -240.0f as min for clipping
v_cvt_f32_fp8 v12, v17 src0_sel:BYTE_0   // convert fp8 in lo_byte[0] to f32
_v_mac_f32 v[vgprValuC+18], v12, s[sgprBeta]       // finalSum = sum*alpha + C*beta
v_cmp_class_f32 s[54:55], v[vgprValuC+18], v16     // check NaN and +/-INF
v_med3_f32 v12, v[vgprValuC+18], v14, v15          // Clipping f32 value if exceeds the limit
v_cndmask_b32 v12, v12, v[vgprValuC+18], s[54:55]  // 
v_cvt_pk_fp8_f32  v18, v12, v12                    // convert f32 accumulated values to fp8
ds_write_b8 v7, v18, offset:16                     // storeRemap lw
v_cvt_f32_fp8 v12, v20 src0_sel:BYTE_0   // convert fp8 in lo_byte[0] to f32
_v_mac_f32 v[vgprValuC+21], v12, s[sgprBeta]       // finalSum = sum*alpha + C*beta
v_cmp_class_f32 s[54:55], v[vgprValuC+21], v16     // check NaN and +/-INF
v_med3_f32 v12, v[vgprValuC+21], v14, v15          // Clipping f32 value if exceeds the limit
v_cndmask_b32 v12, v12, v[vgprValuC+21], s[54:55]  // 
v_cvt_pk_fp8_f32  v21, v12, v12                    // convert f32 accumulated values to fp8
ds_write_b8 v7, v21, offset:17                     // storeRemap lw
	;; [unrolled: 7-line block ×8, first 2 shown]
s_nop 0                                            // 1 wait state required when next inst writes vgprs held by previous dwordx4 store inst
/* optSingleColVgpr=0 optSharedColVgpr=0 optSGPRUsage=BufferLoad_Edge_Mask optSrdIncForRow=1 */

/******************************************/
/* Global Write Alpha Beta Edge Batch #18 (d1,d0,vc1,vc0) = */
/*    (4,4,0,0:vw1); (4,4,0,1:vw1); (4,4,0,2:vw1); (4,4,0,3:vw1); (4,5,0,0:vw1); (4,5,0,1:vw1); (4,5,0,2:vw1); (4,5,0,3:vw1) */
/******************************************/

/* calc coords, apply mask, and issue loads (if necessary) */
/* (d1,vc1,d0,vc0)=(4,0,4,0) */
s_mov_b32 s54, 128                                 // coordOffset0 d0=4 vc0=0
_v_add_co_u32 v10, vcc, v0, s54                    // coord0.2: coord0 += d0*sg0*VW + vc0
v_cmp_lt_u32 s[54:55], v10, s[sgprSizeI]           // coord0 < size0
v_cmp_lt_u32 s[58:59], v1, s[sgprSizeJ]            // coord1 < size1
s_and_b64 s[58:59], s[54:55], s[58:59]             // in0 && in1
_v_add_lshl_u32 v9, v2, v10, 0x0                   // scaleToBpe: accumulate d0 lower and *= bpe into Cin addr
v_cndmask_b32 v9, -1, v9, s[58:59]                 // LDC clip if OOB. offset
buffer_load_ubyte v17, v9, s[sgprSrdC:sgprSrdC+3], 0, offen offset:0 // load C for beta calc
_v_add_lshl_u32 v9, v3, v10, 0x0                   // scaleToBpe: accumulate d0 lower and *= bpe into Cin addr
v_cndmask_b32 v9, -1, v9, s[58:59]                 // LDD clip if OOB. offset
/* (d1,vc1,d0,vc0)=(4,0,4,1) */
s_mov_b32 s54, 129                                 // coordOffset0 d0=4 vc0=1
_v_add_co_u32 v10, vcc, v0, s54                    // coord0.2: coord0 += d0*sg0*VW + vc0
v_cmp_lt_u32 s[54:55], v10, s[sgprSizeI]           // coord0 < size0
v_cmp_lt_u32 s[58:59], v1, s[sgprSizeJ]            // coord1 < size1
s_and_b64 s[58:59], s[54:55], s[58:59]             // in0 && in1
_v_add_lshl_u32 v19, v2, v10, 0x0                  // scaleToBpe: accumulate d0 lower and *= bpe into Cin addr
v_cndmask_b32 v19, -1, v19, s[58:59]               // LDC clip if OOB. offset
buffer_load_ubyte v20, v19, s[sgprSrdC:sgprSrdC+3], 0, offen offset:0 // load C for beta calc
_v_add_lshl_u32 v19, v3, v10, 0x0                  // scaleToBpe: accumulate d0 lower and *= bpe into Cin addr
v_cndmask_b32 v19, -1, v19, s[58:59]               // LDD clip if OOB. offset
/* (d1,vc1,d0,vc0)=(4,0,4,2) */
s_mov_b32 s54, 130                                 // coordOffset0 d0=4 vc0=2
_v_add_co_u32 v10, vcc, v0, s54                    // coord0.2: coord0 += d0*sg0*VW + vc0
v_cmp_lt_u32 s[54:55], v10, s[sgprSizeI]           // coord0 < size0
v_cmp_lt_u32 s[58:59], v1, s[sgprSizeJ]            // coord1 < size1
s_and_b64 s[58:59], s[54:55], s[58:59]             // in0 && in1
_v_add_lshl_u32 v22, v2, v10, 0x0                  // scaleToBpe: accumulate d0 lower and *= bpe into Cin addr
v_cndmask_b32 v22, -1, v22, s[58:59]               // LDC clip if OOB. offset
buffer_load_ubyte v23, v22, s[sgprSrdC:sgprSrdC+3], 0, offen offset:0 // load C for beta calc
_v_add_lshl_u32 v22, v3, v10, 0x0                  // scaleToBpe: accumulate d0 lower and *= bpe into Cin addr
v_cndmask_b32 v22, -1, v22, s[58:59]               // LDD clip if OOB. offset
	;; [unrolled: 11-line block ×7, first 2 shown]
v_accvgpr_read_b32 v[vgprValuC+18], acc144 // copy acc to vreg[144]
v_accvgpr_read_b32 v[vgprValuC+21], acc145 // copy acc to vreg[145]
v_accvgpr_read_b32 v[vgprValuC+24], acc146 // copy acc to vreg[146]
v_accvgpr_read_b32 v[vgprValuC+27], acc147 // copy acc to vreg[147]
v_accvgpr_read_b32 v[vgprValuC+30], acc148 // copy acc to vreg[148]
v_accvgpr_read_b32 v[vgprValuC+33], acc149 // copy acc to vreg[149]
v_accvgpr_read_b32 v[vgprValuC+36], acc150 // copy acc to vreg[150]
v_accvgpr_read_b32 v[vgprValuC+39], acc151 // copy acc to vreg[151]
s_nop 1                                            // 2 wait states required before reading vgpr

/* rC *= alpha batchElements=[(4, 4, 0, 0), (4, 4, 0, 1), (4, 4, 0, 2), (4, 4, 0, 3), (4, 5, 0, 0), (4, 5, 0, 1), (4, 5, 0, 2), (4, 5, 0, 3)] */
v_mul_f32 v[vgprValuC+18], s[sgprAlpha], v[vgprValuC+18] // *= alpha
v_mul_f32 v[vgprValuC+21], s[sgprAlpha], v[vgprValuC+21] // *= alpha
	;; [unrolled: 1-line block ×8, first 2 shown]
s_waitcnt vmcnt(0)                                 // wait C

/* apply mask, calc new C and issue writes */
v_mov_b32 v16, 0x207                               // flag for Nan and +/- inf
v_mov_b32 v14, 0x43700000                          // save 240.0f as max for clipping
v_mov_b32 v15, 0xC3700000                          // save -240.0f as min for clipping
v_cvt_f32_fp8 v12, v17 src0_sel:BYTE_0   // convert fp8 in lo_byte[0] to f32
_v_mac_f32 v[vgprValuC+18], v12, s[sgprBeta]       // finalSum = sum*alpha + C*beta
v_cmp_class_f32 s[54:55], v[vgprValuC+18], v16     // check NaN and +/-INF
v_med3_f32 v12, v[vgprValuC+18], v14, v15          // Clipping f32 value if exceeds the limit
v_cndmask_b32 v12, v12, v[vgprValuC+18], s[54:55]  // 
v_cvt_pk_fp8_f32  v18, v12, v12                    // convert f32 accumulated values to fp8
ds_write_b8 v7, v18, offset:128                    // storeRemap lw
v_cvt_f32_fp8 v12, v20 src0_sel:BYTE_0   // convert fp8 in lo_byte[0] to f32
_v_mac_f32 v[vgprValuC+21], v12, s[sgprBeta]       // finalSum = sum*alpha + C*beta
v_cmp_class_f32 s[54:55], v[vgprValuC+21], v16     // check NaN and +/-INF
v_med3_f32 v12, v[vgprValuC+21], v14, v15          // Clipping f32 value if exceeds the limit
v_cndmask_b32 v12, v12, v[vgprValuC+21], s[54:55]  // 
v_cvt_pk_fp8_f32  v21, v12, v12                    // convert f32 accumulated values to fp8
ds_write_b8 v7, v21, offset:129                    // storeRemap lw
	;; [unrolled: 7-line block ×8, first 2 shown]
s_nop 0                                            // 1 wait state required when next inst writes vgprs held by previous dwordx4 store inst
/* optSingleColVgpr=0 optSharedColVgpr=0 optSGPRUsage=BufferLoad_Edge_Mask optSrdIncForRow=1 */

/******************************************/
/* Global Write Alpha Beta Edge Batch #19 (d1,d0,vc1,vc0) = */
/*    (4,6,0,0:vw1); (4,6,0,1:vw1); (4,6,0,2:vw1); (4,6,0,3:vw1); (4,7,0,0:vw1); (4,7,0,1:vw1); (4,7,0,2:vw1); (4,7,0,3:vw1) */
/******************************************/

/* calc coords, apply mask, and issue loads (if necessary) */
/* (d1,vc1,d0,vc0)=(4,0,6,0) */
s_mov_b32 s54, 144                                 // coordOffset0 d0=6 vc0=0
_v_add_co_u32 v10, vcc, v0, s54                    // coord0.2: coord0 += d0*sg0*VW + vc0
v_cmp_lt_u32 s[54:55], v10, s[sgprSizeI]           // coord0 < size0
v_cmp_lt_u32 s[58:59], v1, s[sgprSizeJ]            // coord1 < size1
s_and_b64 s[58:59], s[54:55], s[58:59]             // in0 && in1
_v_add_lshl_u32 v9, v2, v10, 0x0                   // scaleToBpe: accumulate d0 lower and *= bpe into Cin addr
v_cndmask_b32 v9, -1, v9, s[58:59]                 // LDC clip if OOB. offset
buffer_load_ubyte v17, v9, s[sgprSrdC:sgprSrdC+3], 0, offen offset:0 // load C for beta calc
_v_add_lshl_u32 v9, v3, v10, 0x0                   // scaleToBpe: accumulate d0 lower and *= bpe into Cin addr
v_cndmask_b32 v9, -1, v9, s[58:59]                 // LDD clip if OOB. offset
/* (d1,vc1,d0,vc0)=(4,0,6,1) */
s_mov_b32 s54, 145                                 // coordOffset0 d0=6 vc0=1
_v_add_co_u32 v10, vcc, v0, s54                    // coord0.2: coord0 += d0*sg0*VW + vc0
v_cmp_lt_u32 s[54:55], v10, s[sgprSizeI]           // coord0 < size0
v_cmp_lt_u32 s[58:59], v1, s[sgprSizeJ]            // coord1 < size1
s_and_b64 s[58:59], s[54:55], s[58:59]             // in0 && in1
_v_add_lshl_u32 v19, v2, v10, 0x0                  // scaleToBpe: accumulate d0 lower and *= bpe into Cin addr
v_cndmask_b32 v19, -1, v19, s[58:59]               // LDC clip if OOB. offset
buffer_load_ubyte v20, v19, s[sgprSrdC:sgprSrdC+3], 0, offen offset:0 // load C for beta calc
_v_add_lshl_u32 v19, v3, v10, 0x0                  // scaleToBpe: accumulate d0 lower and *= bpe into Cin addr
v_cndmask_b32 v19, -1, v19, s[58:59]               // LDD clip if OOB. offset
/* (d1,vc1,d0,vc0)=(4,0,6,2) */
s_mov_b32 s54, 146                                 // coordOffset0 d0=6 vc0=2
_v_add_co_u32 v10, vcc, v0, s54                    // coord0.2: coord0 += d0*sg0*VW + vc0
v_cmp_lt_u32 s[54:55], v10, s[sgprSizeI]           // coord0 < size0
v_cmp_lt_u32 s[58:59], v1, s[sgprSizeJ]            // coord1 < size1
s_and_b64 s[58:59], s[54:55], s[58:59]             // in0 && in1
_v_add_lshl_u32 v22, v2, v10, 0x0                  // scaleToBpe: accumulate d0 lower and *= bpe into Cin addr
v_cndmask_b32 v22, -1, v22, s[58:59]               // LDC clip if OOB. offset
buffer_load_ubyte v23, v22, s[sgprSrdC:sgprSrdC+3], 0, offen offset:0 // load C for beta calc
_v_add_lshl_u32 v22, v3, v10, 0x0                  // scaleToBpe: accumulate d0 lower and *= bpe into Cin addr
v_cndmask_b32 v22, -1, v22, s[58:59]               // LDD clip if OOB. offset
	;; [unrolled: 11-line block ×7, first 2 shown]
v_accvgpr_read_b32 v[vgprValuC+18], acc152 // copy acc to vreg[152]
v_accvgpr_read_b32 v[vgprValuC+21], acc153 // copy acc to vreg[153]
v_accvgpr_read_b32 v[vgprValuC+24], acc154 // copy acc to vreg[154]
v_accvgpr_read_b32 v[vgprValuC+27], acc155 // copy acc to vreg[155]
v_accvgpr_read_b32 v[vgprValuC+30], acc156 // copy acc to vreg[156]
v_accvgpr_read_b32 v[vgprValuC+33], acc157 // copy acc to vreg[157]
v_accvgpr_read_b32 v[vgprValuC+36], acc158 // copy acc to vreg[158]
v_accvgpr_read_b32 v[vgprValuC+39], acc159 // copy acc to vreg[159]
s_nop 1                                            // 2 wait states required before reading vgpr

/* rC *= alpha batchElements=[(4, 6, 0, 0), (4, 6, 0, 1), (4, 6, 0, 2), (4, 6, 0, 3), (4, 7, 0, 0), (4, 7, 0, 1), (4, 7, 0, 2), (4, 7, 0, 3)] */
v_mul_f32 v[vgprValuC+18], s[sgprAlpha], v[vgprValuC+18] // *= alpha
v_mul_f32 v[vgprValuC+21], s[sgprAlpha], v[vgprValuC+21] // *= alpha
	;; [unrolled: 1-line block ×8, first 2 shown]
s_waitcnt vmcnt(0)                                 // wait C

/* apply mask, calc new C and issue writes */
v_mov_b32 v16, 0x207                               // flag for Nan and +/- inf
v_mov_b32 v14, 0x43700000                          // save 240.0f as max for clipping
v_mov_b32 v15, 0xC3700000                          // save -240.0f as min for clipping
v_cvt_f32_fp8 v12, v17 src0_sel:BYTE_0   // convert fp8 in lo_byte[0] to f32
_v_mac_f32 v[vgprValuC+18], v12, s[sgprBeta]       // finalSum = sum*alpha + C*beta
v_cmp_class_f32 s[54:55], v[vgprValuC+18], v16     // check NaN and +/-INF
v_med3_f32 v12, v[vgprValuC+18], v14, v15          // Clipping f32 value if exceeds the limit
v_cndmask_b32 v12, v12, v[vgprValuC+18], s[54:55]  // 
v_cvt_pk_fp8_f32  v18, v12, v12                    // convert f32 accumulated values to fp8
ds_write_b8 v7, v18, offset:144                    // storeRemap lw
v_cvt_f32_fp8 v12, v20 src0_sel:BYTE_0   // convert fp8 in lo_byte[0] to f32
_v_mac_f32 v[vgprValuC+21], v12, s[sgprBeta]       // finalSum = sum*alpha + C*beta
v_cmp_class_f32 s[54:55], v[vgprValuC+21], v16     // check NaN and +/-INF
v_med3_f32 v12, v[vgprValuC+21], v14, v15          // Clipping f32 value if exceeds the limit
v_cndmask_b32 v12, v12, v[vgprValuC+21], s[54:55]  // 
v_cvt_pk_fp8_f32  v21, v12, v12                    // convert f32 accumulated values to fp8
ds_write_b8 v7, v21, offset:145                    // storeRemap lw
	;; [unrolled: 7-line block ×8, first 2 shown]

/* Handle local read and global write */
s_waitcnt lgkmcnt(0)                               // wait for LDS write
s_barrier //wait all lds write finished

_ds_load_b128 v[20:23], v8, offset:0               // storeRemap lr
_ds_load_b128 v[24:27], v8, offset:1088            // storeRemap lr

s_waitcnt lgkmcnt(1)                               // wait for LDS read
_v_add_u32 v11, v5, 0                              // coord1 += nColPerLoad
_v_add_u32 v10, v4, 0                              // coord0 += element index of load vector
_v_add_u32 v9, v6, 0                               // offset coord1 += nColPerLoad
v_cmp_lt_u32 s[54:55], v10, s[sgprSizeI]           // coord0 < size0
v_cmp_lt_u32 s[56:57], v11, s[sgprSizeJ]           // coord1 < size1
s_and_b64 s[56:57], s[54:55], s[56:57]             // in0 && in1
v_mul_lo_u32 v9, v9, s[sgprStrideD1J]              // coord1 element offset =  coord1 * StrideD
_v_add_lshl_u32 v9, v9, v10, 0x0                   // scale to BPE
v_cndmask_b32 v9, -1, v9, s[56:57]                 // clip if OOB. offset
buffer_store_byte v20, v9, s[sgprSrdD:sgprSrdD+3], 0, offen, offset:0 // store D
_v_add_u32 v11, v5, 0                              // coord1 += nColPerLoad
_v_add_u32 v10, v4, 1                              // coord0 += element index of load vector
_v_add_u32 v9, v6, 0                               // offset coord1 += nColPerLoad
v_cmp_lt_u32 s[54:55], v10, s[sgprSizeI]           // coord0 < size0
v_cmp_lt_u32 s[56:57], v11, s[sgprSizeJ]           // coord1 < size1
s_and_b64 s[56:57], s[54:55], s[56:57]             // in0 && in1
v_mul_lo_u32 v9, v9, s[sgprStrideD1J]              // coord1 element offset =  coord1 * StrideD
_v_add_lshl_u32 v9, v9, v10, 0x0                   // scale to BPE
v_cndmask_b32 v9, -1, v9, s[56:57]                 // clip if OOB. offset
v_lshrrev_b32 v17, 8, v20                          // vGWTmp = src >> 8
buffer_store_byte v17, v9, s[sgprSrdD:sgprSrdD+3], 0, offen, offset:0 // store D
_v_add_u32 v11, v5, 0                              // coord1 += nColPerLoad
_v_add_u32 v10, v4, 2                              // coord0 += element index of load vector
_v_add_u32 v9, v6, 0                               // offset coord1 += nColPerLoad
v_cmp_lt_u32 s[54:55], v10, s[sgprSizeI]           // coord0 < size0
v_cmp_lt_u32 s[56:57], v11, s[sgprSizeJ]           // coord1 < size1
s_and_b64 s[56:57], s[54:55], s[56:57]             // in0 && in1
v_mul_lo_u32 v9, v9, s[sgprStrideD1J]              // coord1 element offset =  coord1 * StrideD
_v_add_lshl_u32 v9, v9, v10, 0x0                   // scale to BPE
v_cndmask_b32 v9, -1, v9, s[56:57]                 // clip if OOB. offset
buffer_store_byte_d16_hi v20, v9, s[sgprSrdD:sgprSrdD+3], 0, offen, offset:0 // store D
_v_add_u32 v11, v5, 0                              // coord1 += nColPerLoad
_v_add_u32 v10, v4, 3                              // coord0 += element index of load vector
_v_add_u32 v9, v6, 0                               // offset coord1 += nColPerLoad
v_cmp_lt_u32 s[54:55], v10, s[sgprSizeI]           // coord0 < size0
v_cmp_lt_u32 s[56:57], v11, s[sgprSizeJ]           // coord1 < size1
s_and_b64 s[56:57], s[54:55], s[56:57]             // in0 && in1
v_mul_lo_u32 v9, v9, s[sgprStrideD1J]              // coord1 element offset =  coord1 * StrideD
_v_add_lshl_u32 v9, v9, v10, 0x0                   // scale to BPE
v_cndmask_b32 v9, -1, v9, s[56:57]                 // clip if OOB. offset
v_lshrrev_b32 v17, 8, v20                          // vGWTmp = src >> 8
buffer_store_byte_d16_hi v17, v9, s[sgprSrdD:sgprSrdD+3], 0, offen, offset:0 // store D
_v_add_u32 v11, v5, 0                              // coord1 += nColPerLoad
_v_add_u32 v10, v4, 4                              // coord0 += element index of load vector
_v_add_u32 v9, v6, 0                               // offset coord1 += nColPerLoad
v_cmp_lt_u32 s[54:55], v10, s[sgprSizeI]           // coord0 < size0
v_cmp_lt_u32 s[56:57], v11, s[sgprSizeJ]           // coord1 < size1
s_and_b64 s[56:57], s[54:55], s[56:57]             // in0 && in1
v_mul_lo_u32 v9, v9, s[sgprStrideD1J]              // coord1 element offset =  coord1 * StrideD
_v_add_lshl_u32 v9, v9, v10, 0x0                   // scale to BPE
v_cndmask_b32 v9, -1, v9, s[56:57]                 // clip if OOB. offset
buffer_store_byte v21, v9, s[sgprSrdD:sgprSrdD+3], 0, offen, offset:0 // store D
_v_add_u32 v11, v5, 0                              // coord1 += nColPerLoad
_v_add_u32 v10, v4, 5                              // coord0 += element index of load vector
_v_add_u32 v9, v6, 0                               // offset coord1 += nColPerLoad
v_cmp_lt_u32 s[54:55], v10, s[sgprSizeI]           // coord0 < size0
v_cmp_lt_u32 s[56:57], v11, s[sgprSizeJ]           // coord1 < size1
s_and_b64 s[56:57], s[54:55], s[56:57]             // in0 && in1
v_mul_lo_u32 v9, v9, s[sgprStrideD1J]              // coord1 element offset =  coord1 * StrideD
_v_add_lshl_u32 v9, v9, v10, 0x0                   // scale to BPE
v_cndmask_b32 v9, -1, v9, s[56:57]                 // clip if OOB. offset
v_lshrrev_b32 v17, 8, v21                          // vGWTmp = src >> 8
buffer_store_byte v17, v9, s[sgprSrdD:sgprSrdD+3], 0, offen, offset:0 // store D
_v_add_u32 v11, v5, 0                              // coord1 += nColPerLoad
_v_add_u32 v10, v4, 6                              // coord0 += element index of load vector
_v_add_u32 v9, v6, 0                               // offset coord1 += nColPerLoad
v_cmp_lt_u32 s[54:55], v10, s[sgprSizeI]           // coord0 < size0
v_cmp_lt_u32 s[56:57], v11, s[sgprSizeJ]           // coord1 < size1
s_and_b64 s[56:57], s[54:55], s[56:57]             // in0 && in1
v_mul_lo_u32 v9, v9, s[sgprStrideD1J]              // coord1 element offset =  coord1 * StrideD
_v_add_lshl_u32 v9, v9, v10, 0x0                   // scale to BPE
v_cndmask_b32 v9, -1, v9, s[56:57]                 // clip if OOB. offset
buffer_store_byte_d16_hi v21, v9, s[sgprSrdD:sgprSrdD+3], 0, offen, offset:0 // store D
_v_add_u32 v11, v5, 0                              // coord1 += nColPerLoad
_v_add_u32 v10, v4, 7                              // coord0 += element index of load vector
_v_add_u32 v9, v6, 0                               // offset coord1 += nColPerLoad
v_cmp_lt_u32 s[54:55], v10, s[sgprSizeI]           // coord0 < size0
v_cmp_lt_u32 s[56:57], v11, s[sgprSizeJ]           // coord1 < size1
s_and_b64 s[56:57], s[54:55], s[56:57]             // in0 && in1
v_mul_lo_u32 v9, v9, s[sgprStrideD1J]              // coord1 element offset =  coord1 * StrideD
_v_add_lshl_u32 v9, v9, v10, 0x0                   // scale to BPE
v_cndmask_b32 v9, -1, v9, s[56:57]                 // clip if OOB. offset
v_lshrrev_b32 v17, 8, v21                          // vGWTmp = src >> 8
buffer_store_byte_d16_hi v17, v9, s[sgprSrdD:sgprSrdD+3], 0, offen, offset:0 // store D
_v_add_u32 v11, v5, 0                              // coord1 += nColPerLoad
_v_add_u32 v10, v4, 8                              // coord0 += element index of load vector
_v_add_u32 v9, v6, 0                               // offset coord1 += nColPerLoad
v_cmp_lt_u32 s[54:55], v10, s[sgprSizeI]           // coord0 < size0
v_cmp_lt_u32 s[56:57], v11, s[sgprSizeJ]           // coord1 < size1
s_and_b64 s[56:57], s[54:55], s[56:57]             // in0 && in1
v_mul_lo_u32 v9, v9, s[sgprStrideD1J]              // coord1 element offset =  coord1 * StrideD
_v_add_lshl_u32 v9, v9, v10, 0x0                   // scale to BPE
v_cndmask_b32 v9, -1, v9, s[56:57]                 // clip if OOB. offset
buffer_store_byte v22, v9, s[sgprSrdD:sgprSrdD+3], 0, offen, offset:0 // store D
_v_add_u32 v11, v5, 0                              // coord1 += nColPerLoad
_v_add_u32 v10, v4, 9                              // coord0 += element index of load vector
_v_add_u32 v9, v6, 0                               // offset coord1 += nColPerLoad
v_cmp_lt_u32 s[54:55], v10, s[sgprSizeI]           // coord0 < size0
v_cmp_lt_u32 s[56:57], v11, s[sgprSizeJ]           // coord1 < size1
s_and_b64 s[56:57], s[54:55], s[56:57]             // in0 && in1
v_mul_lo_u32 v9, v9, s[sgprStrideD1J]              // coord1 element offset =  coord1 * StrideD
_v_add_lshl_u32 v9, v9, v10, 0x0                   // scale to BPE
v_cndmask_b32 v9, -1, v9, s[56:57]                 // clip if OOB. offset
v_lshrrev_b32 v17, 8, v22                          // vGWTmp = src >> 8
buffer_store_byte v17, v9, s[sgprSrdD:sgprSrdD+3], 0, offen, offset:0 // store D
_v_add_u32 v11, v5, 0                              // coord1 += nColPerLoad
_v_add_u32 v10, v4, 10                             // coord0 += element index of load vector
_v_add_u32 v9, v6, 0                               // offset coord1 += nColPerLoad
v_cmp_lt_u32 s[54:55], v10, s[sgprSizeI]           // coord0 < size0
v_cmp_lt_u32 s[56:57], v11, s[sgprSizeJ]           // coord1 < size1
s_and_b64 s[56:57], s[54:55], s[56:57]             // in0 && in1
v_mul_lo_u32 v9, v9, s[sgprStrideD1J]              // coord1 element offset =  coord1 * StrideD
_v_add_lshl_u32 v9, v9, v10, 0x0                   // scale to BPE
v_cndmask_b32 v9, -1, v9, s[56:57]                 // clip if OOB. offset
buffer_store_byte_d16_hi v22, v9, s[sgprSrdD:sgprSrdD+3], 0, offen, offset:0 // store D
_v_add_u32 v11, v5, 0                              // coord1 += nColPerLoad
_v_add_u32 v10, v4, 11                             // coord0 += element index of load vector
_v_add_u32 v9, v6, 0                               // offset coord1 += nColPerLoad
v_cmp_lt_u32 s[54:55], v10, s[sgprSizeI]           // coord0 < size0
v_cmp_lt_u32 s[56:57], v11, s[sgprSizeJ]           // coord1 < size1
s_and_b64 s[56:57], s[54:55], s[56:57]             // in0 && in1
v_mul_lo_u32 v9, v9, s[sgprStrideD1J]              // coord1 element offset =  coord1 * StrideD
_v_add_lshl_u32 v9, v9, v10, 0x0                   // scale to BPE
v_cndmask_b32 v9, -1, v9, s[56:57]                 // clip if OOB. offset
v_lshrrev_b32 v17, 8, v22                          // vGWTmp = src >> 8
buffer_store_byte_d16_hi v17, v9, s[sgprSrdD:sgprSrdD+3], 0, offen, offset:0 // store D
_v_add_u32 v11, v5, 0                              // coord1 += nColPerLoad
_v_add_u32 v10, v4, 12                             // coord0 += element index of load vector
_v_add_u32 v9, v6, 0                               // offset coord1 += nColPerLoad
v_cmp_lt_u32 s[54:55], v10, s[sgprSizeI]           // coord0 < size0
v_cmp_lt_u32 s[56:57], v11, s[sgprSizeJ]           // coord1 < size1
s_and_b64 s[56:57], s[54:55], s[56:57]             // in0 && in1
v_mul_lo_u32 v9, v9, s[sgprStrideD1J]              // coord1 element offset =  coord1 * StrideD
_v_add_lshl_u32 v9, v9, v10, 0x0                   // scale to BPE
v_cndmask_b32 v9, -1, v9, s[56:57]                 // clip if OOB. offset
buffer_store_byte v23, v9, s[sgprSrdD:sgprSrdD+3], 0, offen, offset:0 // store D
_v_add_u32 v11, v5, 0                              // coord1 += nColPerLoad
_v_add_u32 v10, v4, 13                             // coord0 += element index of load vector
_v_add_u32 v9, v6, 0                               // offset coord1 += nColPerLoad
v_cmp_lt_u32 s[54:55], v10, s[sgprSizeI]           // coord0 < size0
v_cmp_lt_u32 s[56:57], v11, s[sgprSizeJ]           // coord1 < size1
s_and_b64 s[56:57], s[54:55], s[56:57]             // in0 && in1
v_mul_lo_u32 v9, v9, s[sgprStrideD1J]              // coord1 element offset =  coord1 * StrideD
_v_add_lshl_u32 v9, v9, v10, 0x0                   // scale to BPE
v_cndmask_b32 v9, -1, v9, s[56:57]                 // clip if OOB. offset
v_lshrrev_b32 v17, 8, v23                          // vGWTmp = src >> 8
buffer_store_byte v17, v9, s[sgprSrdD:sgprSrdD+3], 0, offen, offset:0 // store D
_v_add_u32 v11, v5, 0                              // coord1 += nColPerLoad
_v_add_u32 v10, v4, 14                             // coord0 += element index of load vector
_v_add_u32 v9, v6, 0                               // offset coord1 += nColPerLoad
v_cmp_lt_u32 s[54:55], v10, s[sgprSizeI]           // coord0 < size0
v_cmp_lt_u32 s[56:57], v11, s[sgprSizeJ]           // coord1 < size1
s_and_b64 s[56:57], s[54:55], s[56:57]             // in0 && in1
v_mul_lo_u32 v9, v9, s[sgprStrideD1J]              // coord1 element offset =  coord1 * StrideD
_v_add_lshl_u32 v9, v9, v10, 0x0                   // scale to BPE
v_cndmask_b32 v9, -1, v9, s[56:57]                 // clip if OOB. offset
buffer_store_byte_d16_hi v23, v9, s[sgprSrdD:sgprSrdD+3], 0, offen, offset:0 // store D
_v_add_u32 v11, v5, 0                              // coord1 += nColPerLoad
_v_add_u32 v10, v4, 15                             // coord0 += element index of load vector
_v_add_u32 v9, v6, 0                               // offset coord1 += nColPerLoad
v_cmp_lt_u32 s[54:55], v10, s[sgprSizeI]           // coord0 < size0
v_cmp_lt_u32 s[56:57], v11, s[sgprSizeJ]           // coord1 < size1
s_and_b64 s[56:57], s[54:55], s[56:57]             // in0 && in1
v_mul_lo_u32 v9, v9, s[sgprStrideD1J]              // coord1 element offset =  coord1 * StrideD
_v_add_lshl_u32 v9, v9, v10, 0x0                   // scale to BPE
v_cndmask_b32 v9, -1, v9, s[56:57]                 // clip if OOB. offset
v_lshrrev_b32 v17, 8, v23                          // vGWTmp = src >> 8
buffer_store_byte_d16_hi v17, v9, s[sgprSrdD:sgprSrdD+3], 0, offen, offset:0 // store D
s_waitcnt lgkmcnt(0)                               // wait for LDS read
_v_add_u32 v11, v5, 4                              // coord1 += nColPerLoad
_v_add_u32 v10, v4, 0                              // coord0 += element index of load vector
_v_add_u32 v9, v6, 4                               // offset coord1 += nColPerLoad
v_cmp_lt_u32 s[54:55], v10, s[sgprSizeI]           // coord0 < size0
v_cmp_lt_u32 s[56:57], v11, s[sgprSizeJ]           // coord1 < size1
s_and_b64 s[56:57], s[54:55], s[56:57]             // in0 && in1
v_mul_lo_u32 v9, v9, s[sgprStrideD1J]              // coord1 element offset =  coord1 * StrideD
_v_add_lshl_u32 v9, v9, v10, 0x0                   // scale to BPE
v_cndmask_b32 v9, -1, v9, s[56:57]                 // clip if OOB. offset
buffer_store_byte v24, v9, s[sgprSrdD:sgprSrdD+3], 0, offen, offset:0 // store D
_v_add_u32 v11, v5, 4                              // coord1 += nColPerLoad
_v_add_u32 v10, v4, 1                              // coord0 += element index of load vector
_v_add_u32 v9, v6, 4                               // offset coord1 += nColPerLoad
v_cmp_lt_u32 s[54:55], v10, s[sgprSizeI]           // coord0 < size0
v_cmp_lt_u32 s[56:57], v11, s[sgprSizeJ]           // coord1 < size1
s_and_b64 s[56:57], s[54:55], s[56:57]             // in0 && in1
v_mul_lo_u32 v9, v9, s[sgprStrideD1J]              // coord1 element offset =  coord1 * StrideD
_v_add_lshl_u32 v9, v9, v10, 0x0                   // scale to BPE
v_cndmask_b32 v9, -1, v9, s[56:57]                 // clip if OOB. offset
v_lshrrev_b32 v17, 8, v24                          // vGWTmp = src >> 8
buffer_store_byte v17, v9, s[sgprSrdD:sgprSrdD+3], 0, offen, offset:0 // store D
_v_add_u32 v11, v5, 4                              // coord1 += nColPerLoad
_v_add_u32 v10, v4, 2                              // coord0 += element index of load vector
_v_add_u32 v9, v6, 4                               // offset coord1 += nColPerLoad
v_cmp_lt_u32 s[54:55], v10, s[sgprSizeI]           // coord0 < size0
v_cmp_lt_u32 s[56:57], v11, s[sgprSizeJ]           // coord1 < size1
s_and_b64 s[56:57], s[54:55], s[56:57]             // in0 && in1
v_mul_lo_u32 v9, v9, s[sgprStrideD1J]              // coord1 element offset =  coord1 * StrideD
_v_add_lshl_u32 v9, v9, v10, 0x0                   // scale to BPE
v_cndmask_b32 v9, -1, v9, s[56:57]                 // clip if OOB. offset
buffer_store_byte_d16_hi v24, v9, s[sgprSrdD:sgprSrdD+3], 0, offen, offset:0 // store D
_v_add_u32 v11, v5, 4                              // coord1 += nColPerLoad
_v_add_u32 v10, v4, 3                              // coord0 += element index of load vector
_v_add_u32 v9, v6, 4                               // offset coord1 += nColPerLoad
v_cmp_lt_u32 s[54:55], v10, s[sgprSizeI]           // coord0 < size0
v_cmp_lt_u32 s[56:57], v11, s[sgprSizeJ]           // coord1 < size1
s_and_b64 s[56:57], s[54:55], s[56:57]             // in0 && in1
v_mul_lo_u32 v9, v9, s[sgprStrideD1J]              // coord1 element offset =  coord1 * StrideD
_v_add_lshl_u32 v9, v9, v10, 0x0                   // scale to BPE
v_cndmask_b32 v9, -1, v9, s[56:57]                 // clip if OOB. offset
v_lshrrev_b32 v17, 8, v24                          // vGWTmp = src >> 8
buffer_store_byte_d16_hi v17, v9, s[sgprSrdD:sgprSrdD+3], 0, offen, offset:0 // store D
_v_add_u32 v11, v5, 4                              // coord1 += nColPerLoad
_v_add_u32 v10, v4, 4                              // coord0 += element index of load vector
_v_add_u32 v9, v6, 4                               // offset coord1 += nColPerLoad
v_cmp_lt_u32 s[54:55], v10, s[sgprSizeI]           // coord0 < size0
v_cmp_lt_u32 s[56:57], v11, s[sgprSizeJ]           // coord1 < size1
s_and_b64 s[56:57], s[54:55], s[56:57]             // in0 && in1
v_mul_lo_u32 v9, v9, s[sgprStrideD1J]              // coord1 element offset =  coord1 * StrideD
_v_add_lshl_u32 v9, v9, v10, 0x0                   // scale to BPE
v_cndmask_b32 v9, -1, v9, s[56:57]                 // clip if OOB. offset
buffer_store_byte v25, v9, s[sgprSrdD:sgprSrdD+3], 0, offen, offset:0 // store D
_v_add_u32 v11, v5, 4                              // coord1 += nColPerLoad
_v_add_u32 v10, v4, 5                              // coord0 += element index of load vector
_v_add_u32 v9, v6, 4                               // offset coord1 += nColPerLoad
v_cmp_lt_u32 s[54:55], v10, s[sgprSizeI]           // coord0 < size0
v_cmp_lt_u32 s[56:57], v11, s[sgprSizeJ]           // coord1 < size1
s_and_b64 s[56:57], s[54:55], s[56:57]             // in0 && in1
v_mul_lo_u32 v9, v9, s[sgprStrideD1J]              // coord1 element offset =  coord1 * StrideD
_v_add_lshl_u32 v9, v9, v10, 0x0                   // scale to BPE
v_cndmask_b32 v9, -1, v9, s[56:57]                 // clip if OOB. offset
v_lshrrev_b32 v17, 8, v25                          // vGWTmp = src >> 8
buffer_store_byte v17, v9, s[sgprSrdD:sgprSrdD+3], 0, offen, offset:0 // store D
_v_add_u32 v11, v5, 4                              // coord1 += nColPerLoad
_v_add_u32 v10, v4, 6                              // coord0 += element index of load vector
_v_add_u32 v9, v6, 4                               // offset coord1 += nColPerLoad
v_cmp_lt_u32 s[54:55], v10, s[sgprSizeI]           // coord0 < size0
v_cmp_lt_u32 s[56:57], v11, s[sgprSizeJ]           // coord1 < size1
s_and_b64 s[56:57], s[54:55], s[56:57]             // in0 && in1
v_mul_lo_u32 v9, v9, s[sgprStrideD1J]              // coord1 element offset =  coord1 * StrideD
_v_add_lshl_u32 v9, v9, v10, 0x0                   // scale to BPE
v_cndmask_b32 v9, -1, v9, s[56:57]                 // clip if OOB. offset
buffer_store_byte_d16_hi v25, v9, s[sgprSrdD:sgprSrdD+3], 0, offen, offset:0 // store D
_v_add_u32 v11, v5, 4                              // coord1 += nColPerLoad
_v_add_u32 v10, v4, 7                              // coord0 += element index of load vector
_v_add_u32 v9, v6, 4                               // offset coord1 += nColPerLoad
v_cmp_lt_u32 s[54:55], v10, s[sgprSizeI]           // coord0 < size0
v_cmp_lt_u32 s[56:57], v11, s[sgprSizeJ]           // coord1 < size1
s_and_b64 s[56:57], s[54:55], s[56:57]             // in0 && in1
v_mul_lo_u32 v9, v9, s[sgprStrideD1J]              // coord1 element offset =  coord1 * StrideD
_v_add_lshl_u32 v9, v9, v10, 0x0                   // scale to BPE
v_cndmask_b32 v9, -1, v9, s[56:57]                 // clip if OOB. offset
v_lshrrev_b32 v17, 8, v25                          // vGWTmp = src >> 8
buffer_store_byte_d16_hi v17, v9, s[sgprSrdD:sgprSrdD+3], 0, offen, offset:0 // store D
_v_add_u32 v11, v5, 4                              // coord1 += nColPerLoad
_v_add_u32 v10, v4, 8                              // coord0 += element index of load vector
_v_add_u32 v9, v6, 4                               // offset coord1 += nColPerLoad
v_cmp_lt_u32 s[54:55], v10, s[sgprSizeI]           // coord0 < size0
v_cmp_lt_u32 s[56:57], v11, s[sgprSizeJ]           // coord1 < size1
s_and_b64 s[56:57], s[54:55], s[56:57]             // in0 && in1
v_mul_lo_u32 v9, v9, s[sgprStrideD1J]              // coord1 element offset =  coord1 * StrideD
_v_add_lshl_u32 v9, v9, v10, 0x0                   // scale to BPE
v_cndmask_b32 v9, -1, v9, s[56:57]                 // clip if OOB. offset
buffer_store_byte v26, v9, s[sgprSrdD:sgprSrdD+3], 0, offen, offset:0 // store D
_v_add_u32 v11, v5, 4                              // coord1 += nColPerLoad
_v_add_u32 v10, v4, 9                              // coord0 += element index of load vector
_v_add_u32 v9, v6, 4                               // offset coord1 += nColPerLoad
v_cmp_lt_u32 s[54:55], v10, s[sgprSizeI]           // coord0 < size0
v_cmp_lt_u32 s[56:57], v11, s[sgprSizeJ]           // coord1 < size1
s_and_b64 s[56:57], s[54:55], s[56:57]             // in0 && in1
v_mul_lo_u32 v9, v9, s[sgprStrideD1J]              // coord1 element offset =  coord1 * StrideD
_v_add_lshl_u32 v9, v9, v10, 0x0                   // scale to BPE
v_cndmask_b32 v9, -1, v9, s[56:57]                 // clip if OOB. offset
v_lshrrev_b32 v17, 8, v26                          // vGWTmp = src >> 8
buffer_store_byte v17, v9, s[sgprSrdD:sgprSrdD+3], 0, offen, offset:0 // store D
_v_add_u32 v11, v5, 4                              // coord1 += nColPerLoad
_v_add_u32 v10, v4, 10                             // coord0 += element index of load vector
_v_add_u32 v9, v6, 4                               // offset coord1 += nColPerLoad
v_cmp_lt_u32 s[54:55], v10, s[sgprSizeI]           // coord0 < size0
v_cmp_lt_u32 s[56:57], v11, s[sgprSizeJ]           // coord1 < size1
s_and_b64 s[56:57], s[54:55], s[56:57]             // in0 && in1
v_mul_lo_u32 v9, v9, s[sgprStrideD1J]              // coord1 element offset =  coord1 * StrideD
_v_add_lshl_u32 v9, v9, v10, 0x0                   // scale to BPE
v_cndmask_b32 v9, -1, v9, s[56:57]                 // clip if OOB. offset
buffer_store_byte_d16_hi v26, v9, s[sgprSrdD:sgprSrdD+3], 0, offen, offset:0 // store D
_v_add_u32 v11, v5, 4                              // coord1 += nColPerLoad
_v_add_u32 v10, v4, 11                             // coord0 += element index of load vector
_v_add_u32 v9, v6, 4                               // offset coord1 += nColPerLoad
v_cmp_lt_u32 s[54:55], v10, s[sgprSizeI]           // coord0 < size0
v_cmp_lt_u32 s[56:57], v11, s[sgprSizeJ]           // coord1 < size1
s_and_b64 s[56:57], s[54:55], s[56:57]             // in0 && in1
v_mul_lo_u32 v9, v9, s[sgprStrideD1J]              // coord1 element offset =  coord1 * StrideD
_v_add_lshl_u32 v9, v9, v10, 0x0                   // scale to BPE
v_cndmask_b32 v9, -1, v9, s[56:57]                 // clip if OOB. offset
v_lshrrev_b32 v17, 8, v26                          // vGWTmp = src >> 8
buffer_store_byte_d16_hi v17, v9, s[sgprSrdD:sgprSrdD+3], 0, offen, offset:0 // store D
_v_add_u32 v11, v5, 4                              // coord1 += nColPerLoad
_v_add_u32 v10, v4, 12                             // coord0 += element index of load vector
_v_add_u32 v9, v6, 4                               // offset coord1 += nColPerLoad
v_cmp_lt_u32 s[54:55], v10, s[sgprSizeI]           // coord0 < size0
v_cmp_lt_u32 s[56:57], v11, s[sgprSizeJ]           // coord1 < size1
s_and_b64 s[56:57], s[54:55], s[56:57]             // in0 && in1
v_mul_lo_u32 v9, v9, s[sgprStrideD1J]              // coord1 element offset =  coord1 * StrideD
_v_add_lshl_u32 v9, v9, v10, 0x0                   // scale to BPE
v_cndmask_b32 v9, -1, v9, s[56:57]                 // clip if OOB. offset
buffer_store_byte v27, v9, s[sgprSrdD:sgprSrdD+3], 0, offen, offset:0 // store D
_v_add_u32 v11, v5, 4                              // coord1 += nColPerLoad
_v_add_u32 v10, v4, 13                             // coord0 += element index of load vector
_v_add_u32 v9, v6, 4                               // offset coord1 += nColPerLoad
v_cmp_lt_u32 s[54:55], v10, s[sgprSizeI]           // coord0 < size0
v_cmp_lt_u32 s[56:57], v11, s[sgprSizeJ]           // coord1 < size1
s_and_b64 s[56:57], s[54:55], s[56:57]             // in0 && in1
v_mul_lo_u32 v9, v9, s[sgprStrideD1J]              // coord1 element offset =  coord1 * StrideD
_v_add_lshl_u32 v9, v9, v10, 0x0                   // scale to BPE
v_cndmask_b32 v9, -1, v9, s[56:57]                 // clip if OOB. offset
v_lshrrev_b32 v17, 8, v27                          // vGWTmp = src >> 8
buffer_store_byte v17, v9, s[sgprSrdD:sgprSrdD+3], 0, offen, offset:0 // store D
_v_add_u32 v11, v5, 4                              // coord1 += nColPerLoad
_v_add_u32 v10, v4, 14                             // coord0 += element index of load vector
_v_add_u32 v9, v6, 4                               // offset coord1 += nColPerLoad
v_cmp_lt_u32 s[54:55], v10, s[sgprSizeI]           // coord0 < size0
v_cmp_lt_u32 s[56:57], v11, s[sgprSizeJ]           // coord1 < size1
s_and_b64 s[56:57], s[54:55], s[56:57]             // in0 && in1
v_mul_lo_u32 v9, v9, s[sgprStrideD1J]              // coord1 element offset =  coord1 * StrideD
_v_add_lshl_u32 v9, v9, v10, 0x0                   // scale to BPE
v_cndmask_b32 v9, -1, v9, s[56:57]                 // clip if OOB. offset
buffer_store_byte_d16_hi v27, v9, s[sgprSrdD:sgprSrdD+3], 0, offen, offset:0 // store D
_v_add_u32 v11, v5, 4                              // coord1 += nColPerLoad
_v_add_u32 v10, v4, 15                             // coord0 += element index of load vector
_v_add_u32 v9, v6, 4                               // offset coord1 += nColPerLoad
v_cmp_lt_u32 s[54:55], v10, s[sgprSizeI]           // coord0 < size0
v_cmp_lt_u32 s[56:57], v11, s[sgprSizeJ]           // coord1 < size1
s_and_b64 s[56:57], s[54:55], s[56:57]             // in0 && in1
v_mul_lo_u32 v9, v9, s[sgprStrideD1J]              // coord1 element offset =  coord1 * StrideD
_v_add_lshl_u32 v9, v9, v10, 0x0                   // scale to BPE
v_cndmask_b32 v9, -1, v9, s[56:57]                 // clip if OOB. offset
v_lshrrev_b32 v17, 8, v27                          // vGWTmp = src >> 8
buffer_store_byte_d16_hi v17, v9, s[sgprSrdD:sgprSrdD+3], 0, offen, offset:0 // store D

s_barrier //wait all lds read finished
s_nop 0                                            // 1 wait state required when next inst writes vgprs held by previous dwordx4 store inst
/* optSingleColVgpr=0 optSharedColVgpr=0 optSGPRUsage=BufferLoad_Edge_Mask optSrdIncForRow=1 */

/******************************************/
/* Global Write Alpha Beta Edge Batch #20 (d1,d0,vc1,vc0) = */
/*    (5,0,0,0:vw1); (5,0,0,1:vw1); (5,0,0,2:vw1); (5,0,0,3:vw1); (5,1,0,0:vw1); (5,1,0,1:vw1); (5,1,0,2:vw1); (5,1,0,3:vw1) */
/******************************************/

/* calc coords, apply mask, and issue loads (if necessary) */
/* (d1,vc1,d0,vc0)=(5,0,0,0) */
_v_add_co_u32 v1, vcc, v1, 32                      // coord1.1: coord1Vgpr += d1*sg1*VW + vc1
v_cmp_lt_u32 s[54:55], v0, s[sgprSizeI]            // coord0 < size0
v_cmp_lt_u32 s[58:59], v1, s[sgprSizeJ]            // coord1 < size1
s_and_b64 s[58:59], s[54:55], s[58:59]             // in0 && in1
_v_add_lshl_u32 v9, v2, v0, 0x0                    // scaleToBpe: accumulate d0 lower and *= bpe into Cin addr
v_cndmask_b32 v9, -1, v9, s[58:59]                 // LDC clip if OOB. offset
s_mul_i32 s54, s[sgprStrideC1J], 32                // scale StrideC *= numRows(32) * bpe
s_add_u32  s[sgprSrdC+0], s[sgprSrdC+0], s54       // incToNextRow: gra SRD += inc(lower)
s_addc_u32  s[sgprSrdC+1], s[sgprSrdC+1], 0        // incToNextRow: gra SRD += inc(upper)
buffer_load_ubyte v17, v9, s[sgprSrdC:sgprSrdC+3], 0, offen offset:0 // load C for beta calc
_v_add_lshl_u32 v9, v3, v0, 0x0                    // scaleToBpe: accumulate d0 lower and *= bpe into Cin addr
v_cndmask_b32 v9, -1, v9, s[58:59]                 // LDD clip if OOB. offset
/* (d1,vc1,d0,vc0)=(5,0,0,1) */
_v_add_co_u32 v10, vcc, v0, 1                      // coord0.1: coord0 += d0*sg0*VW + vc0
v_cmp_lt_u32 s[54:55], v10, s[sgprSizeI]           // coord0 < size0
v_cmp_lt_u32 s[58:59], v1, s[sgprSizeJ]            // coord1 < size1
s_and_b64 s[58:59], s[54:55], s[58:59]             // in0 && in1
_v_add_lshl_u32 v19, v2, v10, 0x0                  // scaleToBpe: accumulate d0 lower and *= bpe into Cin addr
v_cndmask_b32 v19, -1, v19, s[58:59]               // LDC clip if OOB. offset
buffer_load_ubyte v20, v19, s[sgprSrdC:sgprSrdC+3], 0, offen offset:0 // load C for beta calc
_v_add_lshl_u32 v19, v3, v10, 0x0                  // scaleToBpe: accumulate d0 lower and *= bpe into Cin addr
v_cndmask_b32 v19, -1, v19, s[58:59]               // LDD clip if OOB. offset
/* (d1,vc1,d0,vc0)=(5,0,0,2) */
_v_add_co_u32 v10, vcc, v0, 2                      // coord0.1: coord0 += d0*sg0*VW + vc0
v_cmp_lt_u32 s[54:55], v10, s[sgprSizeI]           // coord0 < size0
v_cmp_lt_u32 s[58:59], v1, s[sgprSizeJ]            // coord1 < size1
s_and_b64 s[58:59], s[54:55], s[58:59]             // in0 && in1
_v_add_lshl_u32 v22, v2, v10, 0x0                  // scaleToBpe: accumulate d0 lower and *= bpe into Cin addr
v_cndmask_b32 v22, -1, v22, s[58:59]               // LDC clip if OOB. offset
buffer_load_ubyte v23, v22, s[sgprSrdC:sgprSrdC+3], 0, offen offset:0 // load C for beta calc
_v_add_lshl_u32 v22, v3, v10, 0x0                  // scaleToBpe: accumulate d0 lower and *= bpe into Cin addr
v_cndmask_b32 v22, -1, v22, s[58:59]               // LDD clip if OOB. offset
	;; [unrolled: 10-line block ×5, first 2 shown]
/* (d1,vc1,d0,vc0)=(5,0,1,2) */
_v_add_co_u32 v10, vcc, v0, 10                     // coord0.1: coord0 += d0*sg0*VW + vc0
v_cmp_lt_u32 s[54:55], v10, s[sgprSizeI]           // coord0 < size0
v_cmp_lt_u32 s[58:59], v1, s[sgprSizeJ]            // coord1 < size1
s_and_b64 s[58:59], s[54:55], s[58:59]             // in0 && in1
_v_add_lshl_u32 v34, v2, v10, 0x0                  // scaleToBpe: accumulate d0 lower and *= bpe into Cin addr
v_cndmask_b32 v34, -1, v34, s[58:59]               // LDC clip if OOB. offset
buffer_load_ubyte v35, v34, s[sgprSrdC:sgprSrdC+3], 0, offen offset:0 // load C for beta calc
_v_add_lshl_u32 v34, v3, v10, 0x0                  // scaleToBpe: accumulate d0 lower and *= bpe into Cin addr
v_cndmask_b32 v34, -1, v34, s[58:59]               // LDD clip if OOB. offset
/* (d1,vc1,d0,vc0)=(5,0,1,3) */
_v_add_co_u32 v10, vcc, v0, 11                     // coord0.1: coord0 += d0*sg0*VW + vc0
v_cmp_lt_u32 s[54:55], v10, s[sgprSizeI]           // coord0 < size0
v_cmp_lt_u32 s[58:59], v1, s[sgprSizeJ]            // coord1 < size1
s_and_b64 s[58:59], s[54:55], s[58:59]             // in0 && in1
_v_add_lshl_u32 v37, v2, v10, 0x0                  // scaleToBpe: accumulate d0 lower and *= bpe into Cin addr
v_cndmask_b32 v37, -1, v37, s[58:59]               // LDC clip if OOB. offset
buffer_load_ubyte v38, v37, s[sgprSrdC:sgprSrdC+3], 0, offen offset:0 // load C for beta calc
_v_add_lshl_u32 v37, v3, v10, 0x0                  // scaleToBpe: accumulate d0 lower and *= bpe into Cin addr
v_cndmask_b32 v37, -1, v37, s[58:59]               // LDD clip if OOB. offset
v_accvgpr_read_b32 v[vgprValuC+18], acc160 // copy acc to vreg[160]
v_accvgpr_read_b32 v[vgprValuC+21], acc161 // copy acc to vreg[161]
v_accvgpr_read_b32 v[vgprValuC+24], acc162 // copy acc to vreg[162]
v_accvgpr_read_b32 v[vgprValuC+27], acc163 // copy acc to vreg[163]
v_accvgpr_read_b32 v[vgprValuC+30], acc164 // copy acc to vreg[164]
v_accvgpr_read_b32 v[vgprValuC+33], acc165 // copy acc to vreg[165]
v_accvgpr_read_b32 v[vgprValuC+36], acc166 // copy acc to vreg[166]
v_accvgpr_read_b32 v[vgprValuC+39], acc167 // copy acc to vreg[167]
s_nop 1                                            // 2 wait states required before reading vgpr

/* rC *= alpha batchElements=[(5, 0, 0, 0), (5, 0, 0, 1), (5, 0, 0, 2), (5, 0, 0, 3), (5, 1, 0, 0), (5, 1, 0, 1), (5, 1, 0, 2), (5, 1, 0, 3)] */
v_mul_f32 v[vgprValuC+18], s[sgprAlpha], v[vgprValuC+18] // *= alpha
v_mul_f32 v[vgprValuC+21], s[sgprAlpha], v[vgprValuC+21] // *= alpha
	;; [unrolled: 1-line block ×8, first 2 shown]
s_waitcnt vmcnt(0)                                 // wait C

/* apply mask, calc new C and issue writes */
v_mov_b32 v16, 0x207                               // flag for Nan and +/- inf
v_mov_b32 v14, 0x43700000                          // save 240.0f as max for clipping
v_mov_b32 v15, 0xC3700000                          // save -240.0f as min for clipping

/* StoreRemap: shift coord1 address */
s_mul_i32 s54, s[sgprStrideD1J], 32                // scale StrideD *= numRows(32) * bpe
s_add_u32  s[sgprSrdD+0], s[sgprSrdD+0], s54       // incToNextRow: gra SRD += inc(lower)
s_addc_u32  s[sgprSrdD+1], s[sgprSrdD+1], 0        // incToNextRow: gra SRD += inc(upper)
v_mov_b32 v10, 32                                  // set shift rows
_v_add_u32 v5, v5, v10                             // shift storeRemap coord1
v_cvt_f32_fp8 v12, v17 src0_sel:BYTE_0   // convert fp8 in lo_byte[0] to f32
_v_mac_f32 v[vgprValuC+18], v12, s[sgprBeta]       // finalSum = sum*alpha + C*beta
v_cmp_class_f32 s[54:55], v[vgprValuC+18], v16     // check NaN and +/-INF
v_med3_f32 v12, v[vgprValuC+18], v14, v15          // Clipping f32 value if exceeds the limit
v_cndmask_b32 v12, v12, v[vgprValuC+18], s[54:55]  // 
v_cvt_pk_fp8_f32  v18, v12, v12                    // convert f32 accumulated values to fp8
ds_write_b8 v7, v18, offset:0                      // storeRemap lw
v_cvt_f32_fp8 v12, v20 src0_sel:BYTE_0   // convert fp8 in lo_byte[0] to f32
_v_mac_f32 v[vgprValuC+21], v12, s[sgprBeta]       // finalSum = sum*alpha + C*beta
v_cmp_class_f32 s[54:55], v[vgprValuC+21], v16     // check NaN and +/-INF
v_med3_f32 v12, v[vgprValuC+21], v14, v15          // Clipping f32 value if exceeds the limit
v_cndmask_b32 v12, v12, v[vgprValuC+21], s[54:55]  // 
v_cvt_pk_fp8_f32  v21, v12, v12                    // convert f32 accumulated values to fp8
ds_write_b8 v7, v21, offset:1                      // storeRemap lw
	;; [unrolled: 7-line block ×6, first 2 shown]
v_cvt_f32_fp8 v12, v35 src0_sel:BYTE_0   // convert fp8 in lo_byte[0] to f32
_v_mac_f32 v[vgprValuC+36], v12, s[sgprBeta]       // finalSum = sum*alpha + C*beta
v_cmp_class_f32 s[54:55], v[vgprValuC+36], v16     // check NaN and +/-INF
v_med3_f32 v12, v[vgprValuC+36], v14, v15          // Clipping f32 value if exceeds the limit
v_cndmask_b32 v12, v12, v[vgprValuC+36], s[54:55]  // 
v_cvt_pk_fp8_f32  v36, v12, v12                    // convert f32 accumulated values to fp8
ds_write_b8 v7, v36, offset:10                     // storeRemap lw
v_cvt_f32_fp8 v12, v38 src0_sel:BYTE_0   // convert fp8 in lo_byte[0] to f32
_v_mac_f32 v[vgprValuC+39], v12, s[sgprBeta]       // finalSum = sum*alpha + C*beta
v_cmp_class_f32 s[54:55], v[vgprValuC+39], v16     // check NaN and +/-INF
v_med3_f32 v12, v[vgprValuC+39], v14, v15          // Clipping f32 value if exceeds the limit
v_cndmask_b32 v12, v12, v[vgprValuC+39], s[54:55]  // 
v_cvt_pk_fp8_f32  v39, v12, v12                    // convert f32 accumulated values to fp8
ds_write_b8 v7, v39, offset:11                     // storeRemap lw
s_nop 0                                            // 1 wait state required when next inst writes vgprs held by previous dwordx4 store inst
/* optSingleColVgpr=0 optSharedColVgpr=0 optSGPRUsage=BufferLoad_Edge_Mask optSrdIncForRow=1 */

/******************************************/
/* Global Write Alpha Beta Edge Batch #21 (d1,d0,vc1,vc0) = */
/*    (5,2,0,0:vw1); (5,2,0,1:vw1); (5,2,0,2:vw1); (5,2,0,3:vw1); (5,3,0,0:vw1); (5,3,0,1:vw1); (5,3,0,2:vw1); (5,3,0,3:vw1) */
/******************************************/

/* calc coords, apply mask, and issue loads (if necessary) */
/* (d1,vc1,d0,vc0)=(5,0,2,0) */
_v_add_co_u32 v10, vcc, v0, 16                     // coord0.1: coord0 += d0*sg0*VW + vc0
v_cmp_lt_u32 s[54:55], v10, s[sgprSizeI]           // coord0 < size0
v_cmp_lt_u32 s[58:59], v1, s[sgprSizeJ]            // coord1 < size1
s_and_b64 s[58:59], s[54:55], s[58:59]             // in0 && in1
_v_add_lshl_u32 v9, v2, v10, 0x0                   // scaleToBpe: accumulate d0 lower and *= bpe into Cin addr
v_cndmask_b32 v9, -1, v9, s[58:59]                 // LDC clip if OOB. offset
buffer_load_ubyte v17, v9, s[sgprSrdC:sgprSrdC+3], 0, offen offset:0 // load C for beta calc
_v_add_lshl_u32 v9, v3, v10, 0x0                   // scaleToBpe: accumulate d0 lower and *= bpe into Cin addr
v_cndmask_b32 v9, -1, v9, s[58:59]                 // LDD clip if OOB. offset
/* (d1,vc1,d0,vc0)=(5,0,2,1) */
_v_add_co_u32 v10, vcc, v0, 17                     // coord0.1: coord0 += d0*sg0*VW + vc0
v_cmp_lt_u32 s[54:55], v10, s[sgprSizeI]           // coord0 < size0
v_cmp_lt_u32 s[58:59], v1, s[sgprSizeJ]            // coord1 < size1
s_and_b64 s[58:59], s[54:55], s[58:59]             // in0 && in1
_v_add_lshl_u32 v19, v2, v10, 0x0                  // scaleToBpe: accumulate d0 lower and *= bpe into Cin addr
v_cndmask_b32 v19, -1, v19, s[58:59]               // LDC clip if OOB. offset
buffer_load_ubyte v20, v19, s[sgprSrdC:sgprSrdC+3], 0, offen offset:0 // load C for beta calc
_v_add_lshl_u32 v19, v3, v10, 0x0                  // scaleToBpe: accumulate d0 lower and *= bpe into Cin addr
v_cndmask_b32 v19, -1, v19, s[58:59]               // LDD clip if OOB. offset
/* (d1,vc1,d0,vc0)=(5,0,2,2) */
_v_add_co_u32 v10, vcc, v0, 18                     // coord0.1: coord0 += d0*sg0*VW + vc0
v_cmp_lt_u32 s[54:55], v10, s[sgprSizeI]           // coord0 < size0
v_cmp_lt_u32 s[58:59], v1, s[sgprSizeJ]            // coord1 < size1
s_and_b64 s[58:59], s[54:55], s[58:59]             // in0 && in1
_v_add_lshl_u32 v22, v2, v10, 0x0                  // scaleToBpe: accumulate d0 lower and *= bpe into Cin addr
v_cndmask_b32 v22, -1, v22, s[58:59]               // LDC clip if OOB. offset
buffer_load_ubyte v23, v22, s[sgprSrdC:sgprSrdC+3], 0, offen offset:0 // load C for beta calc
_v_add_lshl_u32 v22, v3, v10, 0x0                  // scaleToBpe: accumulate d0 lower and *= bpe into Cin addr
v_cndmask_b32 v22, -1, v22, s[58:59]               // LDD clip if OOB. offset
/* (d1,vc1,d0,vc0)=(5,0,2,3) */
_v_add_co_u32 v10, vcc, v0, 19                     // coord0.1: coord0 += d0*sg0*VW + vc0
v_cmp_lt_u32 s[54:55], v10, s[sgprSizeI]           // coord0 < size0
v_cmp_lt_u32 s[58:59], v1, s[sgprSizeJ]            // coord1 < size1
s_and_b64 s[58:59], s[54:55], s[58:59]             // in0 && in1
_v_add_lshl_u32 v25, v2, v10, 0x0                  // scaleToBpe: accumulate d0 lower and *= bpe into Cin addr
v_cndmask_b32 v25, -1, v25, s[58:59]               // LDC clip if OOB. offset
buffer_load_ubyte v26, v25, s[sgprSrdC:sgprSrdC+3], 0, offen offset:0 // load C for beta calc
_v_add_lshl_u32 v25, v3, v10, 0x0                  // scaleToBpe: accumulate d0 lower and *= bpe into Cin addr
v_cndmask_b32 v25, -1, v25, s[58:59]               // LDD clip if OOB. offset
/* (d1,vc1,d0,vc0)=(5,0,3,0) */
_v_add_co_u32 v10, vcc, v0, 24                     // coord0.1: coord0 += d0*sg0*VW + vc0
v_cmp_lt_u32 s[54:55], v10, s[sgprSizeI]           // coord0 < size0
v_cmp_lt_u32 s[58:59], v1, s[sgprSizeJ]            // coord1 < size1
s_and_b64 s[58:59], s[54:55], s[58:59]             // in0 && in1
_v_add_lshl_u32 v28, v2, v10, 0x0                  // scaleToBpe: accumulate d0 lower and *= bpe into Cin addr
v_cndmask_b32 v28, -1, v28, s[58:59]               // LDC clip if OOB. offset
buffer_load_ubyte v29, v28, s[sgprSrdC:sgprSrdC+3], 0, offen offset:0 // load C for beta calc
_v_add_lshl_u32 v28, v3, v10, 0x0                  // scaleToBpe: accumulate d0 lower and *= bpe into Cin addr
v_cndmask_b32 v28, -1, v28, s[58:59]               // LDD clip if OOB. offset
/* (d1,vc1,d0,vc0)=(5,0,3,1) */
_v_add_co_u32 v10, vcc, v0, 25                     // coord0.1: coord0 += d0*sg0*VW + vc0
v_cmp_lt_u32 s[54:55], v10, s[sgprSizeI]           // coord0 < size0
v_cmp_lt_u32 s[58:59], v1, s[sgprSizeJ]            // coord1 < size1
s_and_b64 s[58:59], s[54:55], s[58:59]             // in0 && in1
_v_add_lshl_u32 v31, v2, v10, 0x0                  // scaleToBpe: accumulate d0 lower and *= bpe into Cin addr
v_cndmask_b32 v31, -1, v31, s[58:59]               // LDC clip if OOB. offset
buffer_load_ubyte v32, v31, s[sgprSrdC:sgprSrdC+3], 0, offen offset:0 // load C for beta calc
_v_add_lshl_u32 v31, v3, v10, 0x0                  // scaleToBpe: accumulate d0 lower and *= bpe into Cin addr
v_cndmask_b32 v31, -1, v31, s[58:59]               // LDD clip if OOB. offset
/* (d1,vc1,d0,vc0)=(5,0,3,2) */
_v_add_co_u32 v10, vcc, v0, 26                     // coord0.1: coord0 += d0*sg0*VW + vc0
v_cmp_lt_u32 s[54:55], v10, s[sgprSizeI]           // coord0 < size0
v_cmp_lt_u32 s[58:59], v1, s[sgprSizeJ]            // coord1 < size1
s_and_b64 s[58:59], s[54:55], s[58:59]             // in0 && in1
_v_add_lshl_u32 v34, v2, v10, 0x0                  // scaleToBpe: accumulate d0 lower and *= bpe into Cin addr
v_cndmask_b32 v34, -1, v34, s[58:59]               // LDC clip if OOB. offset
buffer_load_ubyte v35, v34, s[sgprSrdC:sgprSrdC+3], 0, offen offset:0 // load C for beta calc
_v_add_lshl_u32 v34, v3, v10, 0x0                  // scaleToBpe: accumulate d0 lower and *= bpe into Cin addr
v_cndmask_b32 v34, -1, v34, s[58:59]               // LDD clip if OOB. offset
/* (d1,vc1,d0,vc0)=(5,0,3,3) */
_v_add_co_u32 v10, vcc, v0, 27                     // coord0.1: coord0 += d0*sg0*VW + vc0
v_cmp_lt_u32 s[54:55], v10, s[sgprSizeI]           // coord0 < size0
v_cmp_lt_u32 s[58:59], v1, s[sgprSizeJ]            // coord1 < size1
s_and_b64 s[58:59], s[54:55], s[58:59]             // in0 && in1
_v_add_lshl_u32 v37, v2, v10, 0x0                  // scaleToBpe: accumulate d0 lower and *= bpe into Cin addr
v_cndmask_b32 v37, -1, v37, s[58:59]               // LDC clip if OOB. offset
buffer_load_ubyte v38, v37, s[sgprSrdC:sgprSrdC+3], 0, offen offset:0 // load C for beta calc
_v_add_lshl_u32 v37, v3, v10, 0x0                  // scaleToBpe: accumulate d0 lower and *= bpe into Cin addr
v_cndmask_b32 v37, -1, v37, s[58:59]               // LDD clip if OOB. offset
v_accvgpr_read_b32 v[vgprValuC+18], acc168 // copy acc to vreg[168]
v_accvgpr_read_b32 v[vgprValuC+21], acc169 // copy acc to vreg[169]
v_accvgpr_read_b32 v[vgprValuC+24], acc170 // copy acc to vreg[170]
v_accvgpr_read_b32 v[vgprValuC+27], acc171 // copy acc to vreg[171]
v_accvgpr_read_b32 v[vgprValuC+30], acc172 // copy acc to vreg[172]
v_accvgpr_read_b32 v[vgprValuC+33], acc173 // copy acc to vreg[173]
v_accvgpr_read_b32 v[vgprValuC+36], acc174 // copy acc to vreg[174]
v_accvgpr_read_b32 v[vgprValuC+39], acc175 // copy acc to vreg[175]
s_nop 1                                            // 2 wait states required before reading vgpr

/* rC *= alpha batchElements=[(5, 2, 0, 0), (5, 2, 0, 1), (5, 2, 0, 2), (5, 2, 0, 3), (5, 3, 0, 0), (5, 3, 0, 1), (5, 3, 0, 2), (5, 3, 0, 3)] */
v_mul_f32 v[vgprValuC+18], s[sgprAlpha], v[vgprValuC+18] // *= alpha
v_mul_f32 v[vgprValuC+21], s[sgprAlpha], v[vgprValuC+21] // *= alpha
	;; [unrolled: 1-line block ×8, first 2 shown]
s_waitcnt vmcnt(0)                                 // wait C

/* apply mask, calc new C and issue writes */
v_mov_b32 v16, 0x207                               // flag for Nan and +/- inf
v_mov_b32 v14, 0x43700000                          // save 240.0f as max for clipping
v_mov_b32 v15, 0xC3700000                          // save -240.0f as min for clipping
v_cvt_f32_fp8 v12, v17 src0_sel:BYTE_0   // convert fp8 in lo_byte[0] to f32
_v_mac_f32 v[vgprValuC+18], v12, s[sgprBeta]       // finalSum = sum*alpha + C*beta
v_cmp_class_f32 s[54:55], v[vgprValuC+18], v16     // check NaN and +/-INF
v_med3_f32 v12, v[vgprValuC+18], v14, v15          // Clipping f32 value if exceeds the limit
v_cndmask_b32 v12, v12, v[vgprValuC+18], s[54:55]  // 
v_cvt_pk_fp8_f32  v18, v12, v12                    // convert f32 accumulated values to fp8
ds_write_b8 v7, v18, offset:16                     // storeRemap lw
v_cvt_f32_fp8 v12, v20 src0_sel:BYTE_0   // convert fp8 in lo_byte[0] to f32
_v_mac_f32 v[vgprValuC+21], v12, s[sgprBeta]       // finalSum = sum*alpha + C*beta
v_cmp_class_f32 s[54:55], v[vgprValuC+21], v16     // check NaN and +/-INF
v_med3_f32 v12, v[vgprValuC+21], v14, v15          // Clipping f32 value if exceeds the limit
v_cndmask_b32 v12, v12, v[vgprValuC+21], s[54:55]  // 
v_cvt_pk_fp8_f32  v21, v12, v12                    // convert f32 accumulated values to fp8
ds_write_b8 v7, v21, offset:17                     // storeRemap lw
	;; [unrolled: 7-line block ×8, first 2 shown]
s_nop 0                                            // 1 wait state required when next inst writes vgprs held by previous dwordx4 store inst
/* optSingleColVgpr=0 optSharedColVgpr=0 optSGPRUsage=BufferLoad_Edge_Mask optSrdIncForRow=1 */

/******************************************/
/* Global Write Alpha Beta Edge Batch #22 (d1,d0,vc1,vc0) = */
/*    (5,4,0,0:vw1); (5,4,0,1:vw1); (5,4,0,2:vw1); (5,4,0,3:vw1); (5,5,0,0:vw1); (5,5,0,1:vw1); (5,5,0,2:vw1); (5,5,0,3:vw1) */
/******************************************/

/* calc coords, apply mask, and issue loads (if necessary) */
/* (d1,vc1,d0,vc0)=(5,0,4,0) */
s_mov_b32 s54, 128                                 // coordOffset0 d0=4 vc0=0
_v_add_co_u32 v10, vcc, v0, s54                    // coord0.2: coord0 += d0*sg0*VW + vc0
v_cmp_lt_u32 s[54:55], v10, s[sgprSizeI]           // coord0 < size0
v_cmp_lt_u32 s[58:59], v1, s[sgprSizeJ]            // coord1 < size1
s_and_b64 s[58:59], s[54:55], s[58:59]             // in0 && in1
_v_add_lshl_u32 v9, v2, v10, 0x0                   // scaleToBpe: accumulate d0 lower and *= bpe into Cin addr
v_cndmask_b32 v9, -1, v9, s[58:59]                 // LDC clip if OOB. offset
buffer_load_ubyte v17, v9, s[sgprSrdC:sgprSrdC+3], 0, offen offset:0 // load C for beta calc
_v_add_lshl_u32 v9, v3, v10, 0x0                   // scaleToBpe: accumulate d0 lower and *= bpe into Cin addr
v_cndmask_b32 v9, -1, v9, s[58:59]                 // LDD clip if OOB. offset
/* (d1,vc1,d0,vc0)=(5,0,4,1) */
s_mov_b32 s54, 129                                 // coordOffset0 d0=4 vc0=1
_v_add_co_u32 v10, vcc, v0, s54                    // coord0.2: coord0 += d0*sg0*VW + vc0
v_cmp_lt_u32 s[54:55], v10, s[sgprSizeI]           // coord0 < size0
v_cmp_lt_u32 s[58:59], v1, s[sgprSizeJ]            // coord1 < size1
s_and_b64 s[58:59], s[54:55], s[58:59]             // in0 && in1
_v_add_lshl_u32 v19, v2, v10, 0x0                  // scaleToBpe: accumulate d0 lower and *= bpe into Cin addr
v_cndmask_b32 v19, -1, v19, s[58:59]               // LDC clip if OOB. offset
buffer_load_ubyte v20, v19, s[sgprSrdC:sgprSrdC+3], 0, offen offset:0 // load C for beta calc
_v_add_lshl_u32 v19, v3, v10, 0x0                  // scaleToBpe: accumulate d0 lower and *= bpe into Cin addr
v_cndmask_b32 v19, -1, v19, s[58:59]               // LDD clip if OOB. offset
/* (d1,vc1,d0,vc0)=(5,0,4,2) */
s_mov_b32 s54, 130                                 // coordOffset0 d0=4 vc0=2
_v_add_co_u32 v10, vcc, v0, s54                    // coord0.2: coord0 += d0*sg0*VW + vc0
v_cmp_lt_u32 s[54:55], v10, s[sgprSizeI]           // coord0 < size0
v_cmp_lt_u32 s[58:59], v1, s[sgprSizeJ]            // coord1 < size1
s_and_b64 s[58:59], s[54:55], s[58:59]             // in0 && in1
_v_add_lshl_u32 v22, v2, v10, 0x0                  // scaleToBpe: accumulate d0 lower and *= bpe into Cin addr
v_cndmask_b32 v22, -1, v22, s[58:59]               // LDC clip if OOB. offset
buffer_load_ubyte v23, v22, s[sgprSrdC:sgprSrdC+3], 0, offen offset:0 // load C for beta calc
_v_add_lshl_u32 v22, v3, v10, 0x0                  // scaleToBpe: accumulate d0 lower and *= bpe into Cin addr
v_cndmask_b32 v22, -1, v22, s[58:59]               // LDD clip if OOB. offset
	;; [unrolled: 11-line block ×7, first 2 shown]
v_accvgpr_read_b32 v[vgprValuC+18], acc176 // copy acc to vreg[176]
v_accvgpr_read_b32 v[vgprValuC+21], acc177 // copy acc to vreg[177]
v_accvgpr_read_b32 v[vgprValuC+24], acc178 // copy acc to vreg[178]
v_accvgpr_read_b32 v[vgprValuC+27], acc179 // copy acc to vreg[179]
v_accvgpr_read_b32 v[vgprValuC+30], acc180 // copy acc to vreg[180]
v_accvgpr_read_b32 v[vgprValuC+33], acc181 // copy acc to vreg[181]
v_accvgpr_read_b32 v[vgprValuC+36], acc182 // copy acc to vreg[182]
v_accvgpr_read_b32 v[vgprValuC+39], acc183 // copy acc to vreg[183]
s_nop 1                                            // 2 wait states required before reading vgpr

/* rC *= alpha batchElements=[(5, 4, 0, 0), (5, 4, 0, 1), (5, 4, 0, 2), (5, 4, 0, 3), (5, 5, 0, 0), (5, 5, 0, 1), (5, 5, 0, 2), (5, 5, 0, 3)] */
v_mul_f32 v[vgprValuC+18], s[sgprAlpha], v[vgprValuC+18] // *= alpha
v_mul_f32 v[vgprValuC+21], s[sgprAlpha], v[vgprValuC+21] // *= alpha
	;; [unrolled: 1-line block ×8, first 2 shown]
s_waitcnt vmcnt(0)                                 // wait C

/* apply mask, calc new C and issue writes */
v_mov_b32 v16, 0x207                               // flag for Nan and +/- inf
v_mov_b32 v14, 0x43700000                          // save 240.0f as max for clipping
v_mov_b32 v15, 0xC3700000                          // save -240.0f as min for clipping
v_cvt_f32_fp8 v12, v17 src0_sel:BYTE_0   // convert fp8 in lo_byte[0] to f32
_v_mac_f32 v[vgprValuC+18], v12, s[sgprBeta]       // finalSum = sum*alpha + C*beta
v_cmp_class_f32 s[54:55], v[vgprValuC+18], v16     // check NaN and +/-INF
v_med3_f32 v12, v[vgprValuC+18], v14, v15          // Clipping f32 value if exceeds the limit
v_cndmask_b32 v12, v12, v[vgprValuC+18], s[54:55]  // 
v_cvt_pk_fp8_f32  v18, v12, v12                    // convert f32 accumulated values to fp8
ds_write_b8 v7, v18, offset:128                    // storeRemap lw
v_cvt_f32_fp8 v12, v20 src0_sel:BYTE_0   // convert fp8 in lo_byte[0] to f32
_v_mac_f32 v[vgprValuC+21], v12, s[sgprBeta]       // finalSum = sum*alpha + C*beta
v_cmp_class_f32 s[54:55], v[vgprValuC+21], v16     // check NaN and +/-INF
v_med3_f32 v12, v[vgprValuC+21], v14, v15          // Clipping f32 value if exceeds the limit
v_cndmask_b32 v12, v12, v[vgprValuC+21], s[54:55]  // 
v_cvt_pk_fp8_f32  v21, v12, v12                    // convert f32 accumulated values to fp8
ds_write_b8 v7, v21, offset:129                    // storeRemap lw
	;; [unrolled: 7-line block ×8, first 2 shown]
s_nop 0                                            // 1 wait state required when next inst writes vgprs held by previous dwordx4 store inst
/* optSingleColVgpr=0 optSharedColVgpr=0 optSGPRUsage=BufferLoad_Edge_Mask optSrdIncForRow=1 */

/******************************************/
/* Global Write Alpha Beta Edge Batch #23 (d1,d0,vc1,vc0) = */
/*    (5,6,0,0:vw1); (5,6,0,1:vw1); (5,6,0,2:vw1); (5,6,0,3:vw1); (5,7,0,0:vw1); (5,7,0,1:vw1); (5,7,0,2:vw1); (5,7,0,3:vw1) */
/******************************************/

/* calc coords, apply mask, and issue loads (if necessary) */
/* (d1,vc1,d0,vc0)=(5,0,6,0) */
s_mov_b32 s54, 144                                 // coordOffset0 d0=6 vc0=0
_v_add_co_u32 v10, vcc, v0, s54                    // coord0.2: coord0 += d0*sg0*VW + vc0
v_cmp_lt_u32 s[54:55], v10, s[sgprSizeI]           // coord0 < size0
v_cmp_lt_u32 s[58:59], v1, s[sgprSizeJ]            // coord1 < size1
s_and_b64 s[58:59], s[54:55], s[58:59]             // in0 && in1
_v_add_lshl_u32 v9, v2, v10, 0x0                   // scaleToBpe: accumulate d0 lower and *= bpe into Cin addr
v_cndmask_b32 v9, -1, v9, s[58:59]                 // LDC clip if OOB. offset
buffer_load_ubyte v17, v9, s[sgprSrdC:sgprSrdC+3], 0, offen offset:0 // load C for beta calc
_v_add_lshl_u32 v9, v3, v10, 0x0                   // scaleToBpe: accumulate d0 lower and *= bpe into Cin addr
v_cndmask_b32 v9, -1, v9, s[58:59]                 // LDD clip if OOB. offset
/* (d1,vc1,d0,vc0)=(5,0,6,1) */
s_mov_b32 s54, 145                                 // coordOffset0 d0=6 vc0=1
_v_add_co_u32 v10, vcc, v0, s54                    // coord0.2: coord0 += d0*sg0*VW + vc0
v_cmp_lt_u32 s[54:55], v10, s[sgprSizeI]           // coord0 < size0
v_cmp_lt_u32 s[58:59], v1, s[sgprSizeJ]            // coord1 < size1
s_and_b64 s[58:59], s[54:55], s[58:59]             // in0 && in1
_v_add_lshl_u32 v19, v2, v10, 0x0                  // scaleToBpe: accumulate d0 lower and *= bpe into Cin addr
v_cndmask_b32 v19, -1, v19, s[58:59]               // LDC clip if OOB. offset
buffer_load_ubyte v20, v19, s[sgprSrdC:sgprSrdC+3], 0, offen offset:0 // load C for beta calc
_v_add_lshl_u32 v19, v3, v10, 0x0                  // scaleToBpe: accumulate d0 lower and *= bpe into Cin addr
v_cndmask_b32 v19, -1, v19, s[58:59]               // LDD clip if OOB. offset
/* (d1,vc1,d0,vc0)=(5,0,6,2) */
s_mov_b32 s54, 146                                 // coordOffset0 d0=6 vc0=2
_v_add_co_u32 v10, vcc, v0, s54                    // coord0.2: coord0 += d0*sg0*VW + vc0
v_cmp_lt_u32 s[54:55], v10, s[sgprSizeI]           // coord0 < size0
v_cmp_lt_u32 s[58:59], v1, s[sgprSizeJ]            // coord1 < size1
s_and_b64 s[58:59], s[54:55], s[58:59]             // in0 && in1
_v_add_lshl_u32 v22, v2, v10, 0x0                  // scaleToBpe: accumulate d0 lower and *= bpe into Cin addr
v_cndmask_b32 v22, -1, v22, s[58:59]               // LDC clip if OOB. offset
buffer_load_ubyte v23, v22, s[sgprSrdC:sgprSrdC+3], 0, offen offset:0 // load C for beta calc
_v_add_lshl_u32 v22, v3, v10, 0x0                  // scaleToBpe: accumulate d0 lower and *= bpe into Cin addr
v_cndmask_b32 v22, -1, v22, s[58:59]               // LDD clip if OOB. offset
	;; [unrolled: 11-line block ×7, first 2 shown]
v_accvgpr_read_b32 v[vgprValuC+18], acc184 // copy acc to vreg[184]
v_accvgpr_read_b32 v[vgprValuC+21], acc185 // copy acc to vreg[185]
v_accvgpr_read_b32 v[vgprValuC+24], acc186 // copy acc to vreg[186]
v_accvgpr_read_b32 v[vgprValuC+27], acc187 // copy acc to vreg[187]
v_accvgpr_read_b32 v[vgprValuC+30], acc188 // copy acc to vreg[188]
v_accvgpr_read_b32 v[vgprValuC+33], acc189 // copy acc to vreg[189]
v_accvgpr_read_b32 v[vgprValuC+36], acc190 // copy acc to vreg[190]
v_accvgpr_read_b32 v[vgprValuC+39], acc191 // copy acc to vreg[191]
s_nop 1                                            // 2 wait states required before reading vgpr

/* rC *= alpha batchElements=[(5, 6, 0, 0), (5, 6, 0, 1), (5, 6, 0, 2), (5, 6, 0, 3), (5, 7, 0, 0), (5, 7, 0, 1), (5, 7, 0, 2), (5, 7, 0, 3)] */
v_mul_f32 v[vgprValuC+18], s[sgprAlpha], v[vgprValuC+18] // *= alpha
v_mul_f32 v[vgprValuC+21], s[sgprAlpha], v[vgprValuC+21] // *= alpha
	;; [unrolled: 1-line block ×8, first 2 shown]
s_waitcnt vmcnt(0)                                 // wait C

/* apply mask, calc new C and issue writes */
v_mov_b32 v16, 0x207                               // flag for Nan and +/- inf
v_mov_b32 v14, 0x43700000                          // save 240.0f as max for clipping
v_mov_b32 v15, 0xC3700000                          // save -240.0f as min for clipping
v_cvt_f32_fp8 v12, v17 src0_sel:BYTE_0   // convert fp8 in lo_byte[0] to f32
_v_mac_f32 v[vgprValuC+18], v12, s[sgprBeta]       // finalSum = sum*alpha + C*beta
v_cmp_class_f32 s[54:55], v[vgprValuC+18], v16     // check NaN and +/-INF
v_med3_f32 v12, v[vgprValuC+18], v14, v15          // Clipping f32 value if exceeds the limit
v_cndmask_b32 v12, v12, v[vgprValuC+18], s[54:55]  // 
v_cvt_pk_fp8_f32  v18, v12, v12                    // convert f32 accumulated values to fp8
ds_write_b8 v7, v18, offset:144                    // storeRemap lw
v_cvt_f32_fp8 v12, v20 src0_sel:BYTE_0   // convert fp8 in lo_byte[0] to f32
_v_mac_f32 v[vgprValuC+21], v12, s[sgprBeta]       // finalSum = sum*alpha + C*beta
v_cmp_class_f32 s[54:55], v[vgprValuC+21], v16     // check NaN and +/-INF
v_med3_f32 v12, v[vgprValuC+21], v14, v15          // Clipping f32 value if exceeds the limit
v_cndmask_b32 v12, v12, v[vgprValuC+21], s[54:55]  // 
v_cvt_pk_fp8_f32  v21, v12, v12                    // convert f32 accumulated values to fp8
ds_write_b8 v7, v21, offset:145                    // storeRemap lw
	;; [unrolled: 7-line block ×8, first 2 shown]

/* Handle local read and global write */
s_waitcnt lgkmcnt(0)                               // wait for LDS write
s_barrier //wait all lds write finished

_ds_load_b128 v[20:23], v8, offset:0               // storeRemap lr
_ds_load_b128 v[24:27], v8, offset:1088            // storeRemap lr

s_waitcnt lgkmcnt(1)                               // wait for LDS read
_v_add_u32 v11, v5, 0                              // coord1 += nColPerLoad
_v_add_u32 v10, v4, 0                              // coord0 += element index of load vector
_v_add_u32 v9, v6, 0                               // offset coord1 += nColPerLoad
v_cmp_lt_u32 s[54:55], v10, s[sgprSizeI]           // coord0 < size0
v_cmp_lt_u32 s[56:57], v11, s[sgprSizeJ]           // coord1 < size1
s_and_b64 s[56:57], s[54:55], s[56:57]             // in0 && in1
v_mul_lo_u32 v9, v9, s[sgprStrideD1J]              // coord1 element offset =  coord1 * StrideD
_v_add_lshl_u32 v9, v9, v10, 0x0                   // scale to BPE
v_cndmask_b32 v9, -1, v9, s[56:57]                 // clip if OOB. offset
buffer_store_byte v20, v9, s[sgprSrdD:sgprSrdD+3], 0, offen, offset:0 // store D
_v_add_u32 v11, v5, 0                              // coord1 += nColPerLoad
_v_add_u32 v10, v4, 1                              // coord0 += element index of load vector
_v_add_u32 v9, v6, 0                               // offset coord1 += nColPerLoad
v_cmp_lt_u32 s[54:55], v10, s[sgprSizeI]           // coord0 < size0
v_cmp_lt_u32 s[56:57], v11, s[sgprSizeJ]           // coord1 < size1
s_and_b64 s[56:57], s[54:55], s[56:57]             // in0 && in1
v_mul_lo_u32 v9, v9, s[sgprStrideD1J]              // coord1 element offset =  coord1 * StrideD
_v_add_lshl_u32 v9, v9, v10, 0x0                   // scale to BPE
v_cndmask_b32 v9, -1, v9, s[56:57]                 // clip if OOB. offset
v_lshrrev_b32 v17, 8, v20                          // vGWTmp = src >> 8
buffer_store_byte v17, v9, s[sgprSrdD:sgprSrdD+3], 0, offen, offset:0 // store D
_v_add_u32 v11, v5, 0                              // coord1 += nColPerLoad
_v_add_u32 v10, v4, 2                              // coord0 += element index of load vector
_v_add_u32 v9, v6, 0                               // offset coord1 += nColPerLoad
v_cmp_lt_u32 s[54:55], v10, s[sgprSizeI]           // coord0 < size0
v_cmp_lt_u32 s[56:57], v11, s[sgprSizeJ]           // coord1 < size1
s_and_b64 s[56:57], s[54:55], s[56:57]             // in0 && in1
v_mul_lo_u32 v9, v9, s[sgprStrideD1J]              // coord1 element offset =  coord1 * StrideD
_v_add_lshl_u32 v9, v9, v10, 0x0                   // scale to BPE
v_cndmask_b32 v9, -1, v9, s[56:57]                 // clip if OOB. offset
buffer_store_byte_d16_hi v20, v9, s[sgprSrdD:sgprSrdD+3], 0, offen, offset:0 // store D
_v_add_u32 v11, v5, 0                              // coord1 += nColPerLoad
_v_add_u32 v10, v4, 3                              // coord0 += element index of load vector
_v_add_u32 v9, v6, 0                               // offset coord1 += nColPerLoad
v_cmp_lt_u32 s[54:55], v10, s[sgprSizeI]           // coord0 < size0
v_cmp_lt_u32 s[56:57], v11, s[sgprSizeJ]           // coord1 < size1
s_and_b64 s[56:57], s[54:55], s[56:57]             // in0 && in1
v_mul_lo_u32 v9, v9, s[sgprStrideD1J]              // coord1 element offset =  coord1 * StrideD
_v_add_lshl_u32 v9, v9, v10, 0x0                   // scale to BPE
v_cndmask_b32 v9, -1, v9, s[56:57]                 // clip if OOB. offset
v_lshrrev_b32 v17, 8, v20                          // vGWTmp = src >> 8
buffer_store_byte_d16_hi v17, v9, s[sgprSrdD:sgprSrdD+3], 0, offen, offset:0 // store D
_v_add_u32 v11, v5, 0                              // coord1 += nColPerLoad
_v_add_u32 v10, v4, 4                              // coord0 += element index of load vector
_v_add_u32 v9, v6, 0                               // offset coord1 += nColPerLoad
v_cmp_lt_u32 s[54:55], v10, s[sgprSizeI]           // coord0 < size0
v_cmp_lt_u32 s[56:57], v11, s[sgprSizeJ]           // coord1 < size1
s_and_b64 s[56:57], s[54:55], s[56:57]             // in0 && in1
v_mul_lo_u32 v9, v9, s[sgprStrideD1J]              // coord1 element offset =  coord1 * StrideD
_v_add_lshl_u32 v9, v9, v10, 0x0                   // scale to BPE
v_cndmask_b32 v9, -1, v9, s[56:57]                 // clip if OOB. offset
buffer_store_byte v21, v9, s[sgprSrdD:sgprSrdD+3], 0, offen, offset:0 // store D
_v_add_u32 v11, v5, 0                              // coord1 += nColPerLoad
_v_add_u32 v10, v4, 5                              // coord0 += element index of load vector
_v_add_u32 v9, v6, 0                               // offset coord1 += nColPerLoad
v_cmp_lt_u32 s[54:55], v10, s[sgprSizeI]           // coord0 < size0
v_cmp_lt_u32 s[56:57], v11, s[sgprSizeJ]           // coord1 < size1
s_and_b64 s[56:57], s[54:55], s[56:57]             // in0 && in1
v_mul_lo_u32 v9, v9, s[sgprStrideD1J]              // coord1 element offset =  coord1 * StrideD
_v_add_lshl_u32 v9, v9, v10, 0x0                   // scale to BPE
v_cndmask_b32 v9, -1, v9, s[56:57]                 // clip if OOB. offset
v_lshrrev_b32 v17, 8, v21                          // vGWTmp = src >> 8
buffer_store_byte v17, v9, s[sgprSrdD:sgprSrdD+3], 0, offen, offset:0 // store D
_v_add_u32 v11, v5, 0                              // coord1 += nColPerLoad
_v_add_u32 v10, v4, 6                              // coord0 += element index of load vector
_v_add_u32 v9, v6, 0                               // offset coord1 += nColPerLoad
v_cmp_lt_u32 s[54:55], v10, s[sgprSizeI]           // coord0 < size0
v_cmp_lt_u32 s[56:57], v11, s[sgprSizeJ]           // coord1 < size1
s_and_b64 s[56:57], s[54:55], s[56:57]             // in0 && in1
v_mul_lo_u32 v9, v9, s[sgprStrideD1J]              // coord1 element offset =  coord1 * StrideD
_v_add_lshl_u32 v9, v9, v10, 0x0                   // scale to BPE
v_cndmask_b32 v9, -1, v9, s[56:57]                 // clip if OOB. offset
buffer_store_byte_d16_hi v21, v9, s[sgprSrdD:sgprSrdD+3], 0, offen, offset:0 // store D
_v_add_u32 v11, v5, 0                              // coord1 += nColPerLoad
_v_add_u32 v10, v4, 7                              // coord0 += element index of load vector
_v_add_u32 v9, v6, 0                               // offset coord1 += nColPerLoad
v_cmp_lt_u32 s[54:55], v10, s[sgprSizeI]           // coord0 < size0
v_cmp_lt_u32 s[56:57], v11, s[sgprSizeJ]           // coord1 < size1
s_and_b64 s[56:57], s[54:55], s[56:57]             // in0 && in1
v_mul_lo_u32 v9, v9, s[sgprStrideD1J]              // coord1 element offset =  coord1 * StrideD
_v_add_lshl_u32 v9, v9, v10, 0x0                   // scale to BPE
v_cndmask_b32 v9, -1, v9, s[56:57]                 // clip if OOB. offset
v_lshrrev_b32 v17, 8, v21                          // vGWTmp = src >> 8
buffer_store_byte_d16_hi v17, v9, s[sgprSrdD:sgprSrdD+3], 0, offen, offset:0 // store D
_v_add_u32 v11, v5, 0                              // coord1 += nColPerLoad
_v_add_u32 v10, v4, 8                              // coord0 += element index of load vector
_v_add_u32 v9, v6, 0                               // offset coord1 += nColPerLoad
v_cmp_lt_u32 s[54:55], v10, s[sgprSizeI]           // coord0 < size0
v_cmp_lt_u32 s[56:57], v11, s[sgprSizeJ]           // coord1 < size1
s_and_b64 s[56:57], s[54:55], s[56:57]             // in0 && in1
v_mul_lo_u32 v9, v9, s[sgprStrideD1J]              // coord1 element offset =  coord1 * StrideD
_v_add_lshl_u32 v9, v9, v10, 0x0                   // scale to BPE
v_cndmask_b32 v9, -1, v9, s[56:57]                 // clip if OOB. offset
buffer_store_byte v22, v9, s[sgprSrdD:sgprSrdD+3], 0, offen, offset:0 // store D
_v_add_u32 v11, v5, 0                              // coord1 += nColPerLoad
_v_add_u32 v10, v4, 9                              // coord0 += element index of load vector
_v_add_u32 v9, v6, 0                               // offset coord1 += nColPerLoad
v_cmp_lt_u32 s[54:55], v10, s[sgprSizeI]           // coord0 < size0
v_cmp_lt_u32 s[56:57], v11, s[sgprSizeJ]           // coord1 < size1
s_and_b64 s[56:57], s[54:55], s[56:57]             // in0 && in1
v_mul_lo_u32 v9, v9, s[sgprStrideD1J]              // coord1 element offset =  coord1 * StrideD
_v_add_lshl_u32 v9, v9, v10, 0x0                   // scale to BPE
v_cndmask_b32 v9, -1, v9, s[56:57]                 // clip if OOB. offset
v_lshrrev_b32 v17, 8, v22                          // vGWTmp = src >> 8
buffer_store_byte v17, v9, s[sgprSrdD:sgprSrdD+3], 0, offen, offset:0 // store D
_v_add_u32 v11, v5, 0                              // coord1 += nColPerLoad
_v_add_u32 v10, v4, 10                             // coord0 += element index of load vector
_v_add_u32 v9, v6, 0                               // offset coord1 += nColPerLoad
v_cmp_lt_u32 s[54:55], v10, s[sgprSizeI]           // coord0 < size0
v_cmp_lt_u32 s[56:57], v11, s[sgprSizeJ]           // coord1 < size1
s_and_b64 s[56:57], s[54:55], s[56:57]             // in0 && in1
v_mul_lo_u32 v9, v9, s[sgprStrideD1J]              // coord1 element offset =  coord1 * StrideD
_v_add_lshl_u32 v9, v9, v10, 0x0                   // scale to BPE
v_cndmask_b32 v9, -1, v9, s[56:57]                 // clip if OOB. offset
buffer_store_byte_d16_hi v22, v9, s[sgprSrdD:sgprSrdD+3], 0, offen, offset:0 // store D
_v_add_u32 v11, v5, 0                              // coord1 += nColPerLoad
_v_add_u32 v10, v4, 11                             // coord0 += element index of load vector
_v_add_u32 v9, v6, 0                               // offset coord1 += nColPerLoad
v_cmp_lt_u32 s[54:55], v10, s[sgprSizeI]           // coord0 < size0
v_cmp_lt_u32 s[56:57], v11, s[sgprSizeJ]           // coord1 < size1
s_and_b64 s[56:57], s[54:55], s[56:57]             // in0 && in1
v_mul_lo_u32 v9, v9, s[sgprStrideD1J]              // coord1 element offset =  coord1 * StrideD
_v_add_lshl_u32 v9, v9, v10, 0x0                   // scale to BPE
v_cndmask_b32 v9, -1, v9, s[56:57]                 // clip if OOB. offset
v_lshrrev_b32 v17, 8, v22                          // vGWTmp = src >> 8
buffer_store_byte_d16_hi v17, v9, s[sgprSrdD:sgprSrdD+3], 0, offen, offset:0 // store D
_v_add_u32 v11, v5, 0                              // coord1 += nColPerLoad
_v_add_u32 v10, v4, 12                             // coord0 += element index of load vector
_v_add_u32 v9, v6, 0                               // offset coord1 += nColPerLoad
v_cmp_lt_u32 s[54:55], v10, s[sgprSizeI]           // coord0 < size0
v_cmp_lt_u32 s[56:57], v11, s[sgprSizeJ]           // coord1 < size1
s_and_b64 s[56:57], s[54:55], s[56:57]             // in0 && in1
v_mul_lo_u32 v9, v9, s[sgprStrideD1J]              // coord1 element offset =  coord1 * StrideD
_v_add_lshl_u32 v9, v9, v10, 0x0                   // scale to BPE
v_cndmask_b32 v9, -1, v9, s[56:57]                 // clip if OOB. offset
buffer_store_byte v23, v9, s[sgprSrdD:sgprSrdD+3], 0, offen, offset:0 // store D
_v_add_u32 v11, v5, 0                              // coord1 += nColPerLoad
_v_add_u32 v10, v4, 13                             // coord0 += element index of load vector
_v_add_u32 v9, v6, 0                               // offset coord1 += nColPerLoad
v_cmp_lt_u32 s[54:55], v10, s[sgprSizeI]           // coord0 < size0
v_cmp_lt_u32 s[56:57], v11, s[sgprSizeJ]           // coord1 < size1
s_and_b64 s[56:57], s[54:55], s[56:57]             // in0 && in1
v_mul_lo_u32 v9, v9, s[sgprStrideD1J]              // coord1 element offset =  coord1 * StrideD
_v_add_lshl_u32 v9, v9, v10, 0x0                   // scale to BPE
v_cndmask_b32 v9, -1, v9, s[56:57]                 // clip if OOB. offset
v_lshrrev_b32 v17, 8, v23                          // vGWTmp = src >> 8
buffer_store_byte v17, v9, s[sgprSrdD:sgprSrdD+3], 0, offen, offset:0 // store D
_v_add_u32 v11, v5, 0                              // coord1 += nColPerLoad
_v_add_u32 v10, v4, 14                             // coord0 += element index of load vector
_v_add_u32 v9, v6, 0                               // offset coord1 += nColPerLoad
v_cmp_lt_u32 s[54:55], v10, s[sgprSizeI]           // coord0 < size0
v_cmp_lt_u32 s[56:57], v11, s[sgprSizeJ]           // coord1 < size1
s_and_b64 s[56:57], s[54:55], s[56:57]             // in0 && in1
v_mul_lo_u32 v9, v9, s[sgprStrideD1J]              // coord1 element offset =  coord1 * StrideD
_v_add_lshl_u32 v9, v9, v10, 0x0                   // scale to BPE
v_cndmask_b32 v9, -1, v9, s[56:57]                 // clip if OOB. offset
buffer_store_byte_d16_hi v23, v9, s[sgprSrdD:sgprSrdD+3], 0, offen, offset:0 // store D
_v_add_u32 v11, v5, 0                              // coord1 += nColPerLoad
_v_add_u32 v10, v4, 15                             // coord0 += element index of load vector
_v_add_u32 v9, v6, 0                               // offset coord1 += nColPerLoad
v_cmp_lt_u32 s[54:55], v10, s[sgprSizeI]           // coord0 < size0
v_cmp_lt_u32 s[56:57], v11, s[sgprSizeJ]           // coord1 < size1
s_and_b64 s[56:57], s[54:55], s[56:57]             // in0 && in1
v_mul_lo_u32 v9, v9, s[sgprStrideD1J]              // coord1 element offset =  coord1 * StrideD
_v_add_lshl_u32 v9, v9, v10, 0x0                   // scale to BPE
v_cndmask_b32 v9, -1, v9, s[56:57]                 // clip if OOB. offset
v_lshrrev_b32 v17, 8, v23                          // vGWTmp = src >> 8
buffer_store_byte_d16_hi v17, v9, s[sgprSrdD:sgprSrdD+3], 0, offen, offset:0 // store D
s_waitcnt lgkmcnt(0)                               // wait for LDS read
_v_add_u32 v11, v5, 4                              // coord1 += nColPerLoad
_v_add_u32 v10, v4, 0                              // coord0 += element index of load vector
_v_add_u32 v9, v6, 4                               // offset coord1 += nColPerLoad
v_cmp_lt_u32 s[54:55], v10, s[sgprSizeI]           // coord0 < size0
v_cmp_lt_u32 s[56:57], v11, s[sgprSizeJ]           // coord1 < size1
s_and_b64 s[56:57], s[54:55], s[56:57]             // in0 && in1
v_mul_lo_u32 v9, v9, s[sgprStrideD1J]              // coord1 element offset =  coord1 * StrideD
_v_add_lshl_u32 v9, v9, v10, 0x0                   // scale to BPE
v_cndmask_b32 v9, -1, v9, s[56:57]                 // clip if OOB. offset
buffer_store_byte v24, v9, s[sgprSrdD:sgprSrdD+3], 0, offen, offset:0 // store D
_v_add_u32 v11, v5, 4                              // coord1 += nColPerLoad
_v_add_u32 v10, v4, 1                              // coord0 += element index of load vector
_v_add_u32 v9, v6, 4                               // offset coord1 += nColPerLoad
v_cmp_lt_u32 s[54:55], v10, s[sgprSizeI]           // coord0 < size0
v_cmp_lt_u32 s[56:57], v11, s[sgprSizeJ]           // coord1 < size1
s_and_b64 s[56:57], s[54:55], s[56:57]             // in0 && in1
v_mul_lo_u32 v9, v9, s[sgprStrideD1J]              // coord1 element offset =  coord1 * StrideD
_v_add_lshl_u32 v9, v9, v10, 0x0                   // scale to BPE
v_cndmask_b32 v9, -1, v9, s[56:57]                 // clip if OOB. offset
v_lshrrev_b32 v17, 8, v24                          // vGWTmp = src >> 8
buffer_store_byte v17, v9, s[sgprSrdD:sgprSrdD+3], 0, offen, offset:0 // store D
_v_add_u32 v11, v5, 4                              // coord1 += nColPerLoad
_v_add_u32 v10, v4, 2                              // coord0 += element index of load vector
_v_add_u32 v9, v6, 4                               // offset coord1 += nColPerLoad
v_cmp_lt_u32 s[54:55], v10, s[sgprSizeI]           // coord0 < size0
v_cmp_lt_u32 s[56:57], v11, s[sgprSizeJ]           // coord1 < size1
s_and_b64 s[56:57], s[54:55], s[56:57]             // in0 && in1
v_mul_lo_u32 v9, v9, s[sgprStrideD1J]              // coord1 element offset =  coord1 * StrideD
_v_add_lshl_u32 v9, v9, v10, 0x0                   // scale to BPE
v_cndmask_b32 v9, -1, v9, s[56:57]                 // clip if OOB. offset
buffer_store_byte_d16_hi v24, v9, s[sgprSrdD:sgprSrdD+3], 0, offen, offset:0 // store D
_v_add_u32 v11, v5, 4                              // coord1 += nColPerLoad
_v_add_u32 v10, v4, 3                              // coord0 += element index of load vector
_v_add_u32 v9, v6, 4                               // offset coord1 += nColPerLoad
v_cmp_lt_u32 s[54:55], v10, s[sgprSizeI]           // coord0 < size0
v_cmp_lt_u32 s[56:57], v11, s[sgprSizeJ]           // coord1 < size1
s_and_b64 s[56:57], s[54:55], s[56:57]             // in0 && in1
v_mul_lo_u32 v9, v9, s[sgprStrideD1J]              // coord1 element offset =  coord1 * StrideD
_v_add_lshl_u32 v9, v9, v10, 0x0                   // scale to BPE
v_cndmask_b32 v9, -1, v9, s[56:57]                 // clip if OOB. offset
v_lshrrev_b32 v17, 8, v24                          // vGWTmp = src >> 8
buffer_store_byte_d16_hi v17, v9, s[sgprSrdD:sgprSrdD+3], 0, offen, offset:0 // store D
_v_add_u32 v11, v5, 4                              // coord1 += nColPerLoad
_v_add_u32 v10, v4, 4                              // coord0 += element index of load vector
_v_add_u32 v9, v6, 4                               // offset coord1 += nColPerLoad
v_cmp_lt_u32 s[54:55], v10, s[sgprSizeI]           // coord0 < size0
v_cmp_lt_u32 s[56:57], v11, s[sgprSizeJ]           // coord1 < size1
s_and_b64 s[56:57], s[54:55], s[56:57]             // in0 && in1
v_mul_lo_u32 v9, v9, s[sgprStrideD1J]              // coord1 element offset =  coord1 * StrideD
_v_add_lshl_u32 v9, v9, v10, 0x0                   // scale to BPE
v_cndmask_b32 v9, -1, v9, s[56:57]                 // clip if OOB. offset
buffer_store_byte v25, v9, s[sgprSrdD:sgprSrdD+3], 0, offen, offset:0 // store D
_v_add_u32 v11, v5, 4                              // coord1 += nColPerLoad
_v_add_u32 v10, v4, 5                              // coord0 += element index of load vector
_v_add_u32 v9, v6, 4                               // offset coord1 += nColPerLoad
v_cmp_lt_u32 s[54:55], v10, s[sgprSizeI]           // coord0 < size0
v_cmp_lt_u32 s[56:57], v11, s[sgprSizeJ]           // coord1 < size1
s_and_b64 s[56:57], s[54:55], s[56:57]             // in0 && in1
v_mul_lo_u32 v9, v9, s[sgprStrideD1J]              // coord1 element offset =  coord1 * StrideD
_v_add_lshl_u32 v9, v9, v10, 0x0                   // scale to BPE
v_cndmask_b32 v9, -1, v9, s[56:57]                 // clip if OOB. offset
v_lshrrev_b32 v17, 8, v25                          // vGWTmp = src >> 8
buffer_store_byte v17, v9, s[sgprSrdD:sgprSrdD+3], 0, offen, offset:0 // store D
_v_add_u32 v11, v5, 4                              // coord1 += nColPerLoad
_v_add_u32 v10, v4, 6                              // coord0 += element index of load vector
_v_add_u32 v9, v6, 4                               // offset coord1 += nColPerLoad
v_cmp_lt_u32 s[54:55], v10, s[sgprSizeI]           // coord0 < size0
v_cmp_lt_u32 s[56:57], v11, s[sgprSizeJ]           // coord1 < size1
s_and_b64 s[56:57], s[54:55], s[56:57]             // in0 && in1
v_mul_lo_u32 v9, v9, s[sgprStrideD1J]              // coord1 element offset =  coord1 * StrideD
_v_add_lshl_u32 v9, v9, v10, 0x0                   // scale to BPE
v_cndmask_b32 v9, -1, v9, s[56:57]                 // clip if OOB. offset
buffer_store_byte_d16_hi v25, v9, s[sgprSrdD:sgprSrdD+3], 0, offen, offset:0 // store D
_v_add_u32 v11, v5, 4                              // coord1 += nColPerLoad
_v_add_u32 v10, v4, 7                              // coord0 += element index of load vector
_v_add_u32 v9, v6, 4                               // offset coord1 += nColPerLoad
v_cmp_lt_u32 s[54:55], v10, s[sgprSizeI]           // coord0 < size0
v_cmp_lt_u32 s[56:57], v11, s[sgprSizeJ]           // coord1 < size1
s_and_b64 s[56:57], s[54:55], s[56:57]             // in0 && in1
v_mul_lo_u32 v9, v9, s[sgprStrideD1J]              // coord1 element offset =  coord1 * StrideD
_v_add_lshl_u32 v9, v9, v10, 0x0                   // scale to BPE
v_cndmask_b32 v9, -1, v9, s[56:57]                 // clip if OOB. offset
v_lshrrev_b32 v17, 8, v25                          // vGWTmp = src >> 8
buffer_store_byte_d16_hi v17, v9, s[sgprSrdD:sgprSrdD+3], 0, offen, offset:0 // store D
_v_add_u32 v11, v5, 4                              // coord1 += nColPerLoad
_v_add_u32 v10, v4, 8                              // coord0 += element index of load vector
_v_add_u32 v9, v6, 4                               // offset coord1 += nColPerLoad
v_cmp_lt_u32 s[54:55], v10, s[sgprSizeI]           // coord0 < size0
v_cmp_lt_u32 s[56:57], v11, s[sgprSizeJ]           // coord1 < size1
s_and_b64 s[56:57], s[54:55], s[56:57]             // in0 && in1
v_mul_lo_u32 v9, v9, s[sgprStrideD1J]              // coord1 element offset =  coord1 * StrideD
_v_add_lshl_u32 v9, v9, v10, 0x0                   // scale to BPE
v_cndmask_b32 v9, -1, v9, s[56:57]                 // clip if OOB. offset
buffer_store_byte v26, v9, s[sgprSrdD:sgprSrdD+3], 0, offen, offset:0 // store D
_v_add_u32 v11, v5, 4                              // coord1 += nColPerLoad
_v_add_u32 v10, v4, 9                              // coord0 += element index of load vector
_v_add_u32 v9, v6, 4                               // offset coord1 += nColPerLoad
v_cmp_lt_u32 s[54:55], v10, s[sgprSizeI]           // coord0 < size0
v_cmp_lt_u32 s[56:57], v11, s[sgprSizeJ]           // coord1 < size1
s_and_b64 s[56:57], s[54:55], s[56:57]             // in0 && in1
v_mul_lo_u32 v9, v9, s[sgprStrideD1J]              // coord1 element offset =  coord1 * StrideD
_v_add_lshl_u32 v9, v9, v10, 0x0                   // scale to BPE
v_cndmask_b32 v9, -1, v9, s[56:57]                 // clip if OOB. offset
v_lshrrev_b32 v17, 8, v26                          // vGWTmp = src >> 8
buffer_store_byte v17, v9, s[sgprSrdD:sgprSrdD+3], 0, offen, offset:0 // store D
_v_add_u32 v11, v5, 4                              // coord1 += nColPerLoad
_v_add_u32 v10, v4, 10                             // coord0 += element index of load vector
_v_add_u32 v9, v6, 4                               // offset coord1 += nColPerLoad
v_cmp_lt_u32 s[54:55], v10, s[sgprSizeI]           // coord0 < size0
v_cmp_lt_u32 s[56:57], v11, s[sgprSizeJ]           // coord1 < size1
s_and_b64 s[56:57], s[54:55], s[56:57]             // in0 && in1
v_mul_lo_u32 v9, v9, s[sgprStrideD1J]              // coord1 element offset =  coord1 * StrideD
_v_add_lshl_u32 v9, v9, v10, 0x0                   // scale to BPE
v_cndmask_b32 v9, -1, v9, s[56:57]                 // clip if OOB. offset
buffer_store_byte_d16_hi v26, v9, s[sgprSrdD:sgprSrdD+3], 0, offen, offset:0 // store D
_v_add_u32 v11, v5, 4                              // coord1 += nColPerLoad
_v_add_u32 v10, v4, 11                             // coord0 += element index of load vector
_v_add_u32 v9, v6, 4                               // offset coord1 += nColPerLoad
v_cmp_lt_u32 s[54:55], v10, s[sgprSizeI]           // coord0 < size0
v_cmp_lt_u32 s[56:57], v11, s[sgprSizeJ]           // coord1 < size1
s_and_b64 s[56:57], s[54:55], s[56:57]             // in0 && in1
v_mul_lo_u32 v9, v9, s[sgprStrideD1J]              // coord1 element offset =  coord1 * StrideD
_v_add_lshl_u32 v9, v9, v10, 0x0                   // scale to BPE
v_cndmask_b32 v9, -1, v9, s[56:57]                 // clip if OOB. offset
v_lshrrev_b32 v17, 8, v26                          // vGWTmp = src >> 8
buffer_store_byte_d16_hi v17, v9, s[sgprSrdD:sgprSrdD+3], 0, offen, offset:0 // store D
_v_add_u32 v11, v5, 4                              // coord1 += nColPerLoad
_v_add_u32 v10, v4, 12                             // coord0 += element index of load vector
_v_add_u32 v9, v6, 4                               // offset coord1 += nColPerLoad
v_cmp_lt_u32 s[54:55], v10, s[sgprSizeI]           // coord0 < size0
v_cmp_lt_u32 s[56:57], v11, s[sgprSizeJ]           // coord1 < size1
s_and_b64 s[56:57], s[54:55], s[56:57]             // in0 && in1
v_mul_lo_u32 v9, v9, s[sgprStrideD1J]              // coord1 element offset =  coord1 * StrideD
_v_add_lshl_u32 v9, v9, v10, 0x0                   // scale to BPE
v_cndmask_b32 v9, -1, v9, s[56:57]                 // clip if OOB. offset
buffer_store_byte v27, v9, s[sgprSrdD:sgprSrdD+3], 0, offen, offset:0 // store D
_v_add_u32 v11, v5, 4                              // coord1 += nColPerLoad
_v_add_u32 v10, v4, 13                             // coord0 += element index of load vector
_v_add_u32 v9, v6, 4                               // offset coord1 += nColPerLoad
v_cmp_lt_u32 s[54:55], v10, s[sgprSizeI]           // coord0 < size0
v_cmp_lt_u32 s[56:57], v11, s[sgprSizeJ]           // coord1 < size1
s_and_b64 s[56:57], s[54:55], s[56:57]             // in0 && in1
v_mul_lo_u32 v9, v9, s[sgprStrideD1J]              // coord1 element offset =  coord1 * StrideD
_v_add_lshl_u32 v9, v9, v10, 0x0                   // scale to BPE
v_cndmask_b32 v9, -1, v9, s[56:57]                 // clip if OOB. offset
v_lshrrev_b32 v17, 8, v27                          // vGWTmp = src >> 8
buffer_store_byte v17, v9, s[sgprSrdD:sgprSrdD+3], 0, offen, offset:0 // store D
_v_add_u32 v11, v5, 4                              // coord1 += nColPerLoad
_v_add_u32 v10, v4, 14                             // coord0 += element index of load vector
_v_add_u32 v9, v6, 4                               // offset coord1 += nColPerLoad
v_cmp_lt_u32 s[54:55], v10, s[sgprSizeI]           // coord0 < size0
v_cmp_lt_u32 s[56:57], v11, s[sgprSizeJ]           // coord1 < size1
s_and_b64 s[56:57], s[54:55], s[56:57]             // in0 && in1
v_mul_lo_u32 v9, v9, s[sgprStrideD1J]              // coord1 element offset =  coord1 * StrideD
_v_add_lshl_u32 v9, v9, v10, 0x0                   // scale to BPE
v_cndmask_b32 v9, -1, v9, s[56:57]                 // clip if OOB. offset
buffer_store_byte_d16_hi v27, v9, s[sgprSrdD:sgprSrdD+3], 0, offen, offset:0 // store D
_v_add_u32 v11, v5, 4                              // coord1 += nColPerLoad
_v_add_u32 v10, v4, 15                             // coord0 += element index of load vector
_v_add_u32 v9, v6, 4                               // offset coord1 += nColPerLoad
v_cmp_lt_u32 s[54:55], v10, s[sgprSizeI]           // coord0 < size0
v_cmp_lt_u32 s[56:57], v11, s[sgprSizeJ]           // coord1 < size1
s_and_b64 s[56:57], s[54:55], s[56:57]             // in0 && in1
v_mul_lo_u32 v9, v9, s[sgprStrideD1J]              // coord1 element offset =  coord1 * StrideD
_v_add_lshl_u32 v9, v9, v10, 0x0                   // scale to BPE
v_cndmask_b32 v9, -1, v9, s[56:57]                 // clip if OOB. offset
v_lshrrev_b32 v17, 8, v27                          // vGWTmp = src >> 8
buffer_store_byte_d16_hi v17, v9, s[sgprSrdD:sgprSrdD+3], 0, offen, offset:0 // store D

s_barrier //wait all lds read finished
s_nop 0                                            // 1 wait state required when next inst writes vgprs held by previous dwordx4 store inst
/* optSingleColVgpr=0 optSharedColVgpr=0 optSGPRUsage=BufferLoad_Edge_Mask optSrdIncForRow=1 */

/******************************************/
/* Global Write Alpha Beta Edge Batch #24 (d1,d0,vc1,vc0) = */
/*    (6,0,0,0:vw1); (6,0,0,1:vw1); (6,0,0,2:vw1); (6,0,0,3:vw1); (6,1,0,0:vw1); (6,1,0,1:vw1); (6,1,0,2:vw1); (6,1,0,3:vw1) */
/******************************************/

/* calc coords, apply mask, and issue loads (if necessary) */
/* (d1,vc1,d0,vc0)=(6,0,0,0) */
_v_add_co_u32 v1, vcc, v1, 32                      // coord1.1: coord1Vgpr += d1*sg1*VW + vc1
v_cmp_lt_u32 s[54:55], v0, s[sgprSizeI]            // coord0 < size0
v_cmp_lt_u32 s[58:59], v1, s[sgprSizeJ]            // coord1 < size1
s_and_b64 s[58:59], s[54:55], s[58:59]             // in0 && in1
_v_add_lshl_u32 v9, v2, v0, 0x0                    // scaleToBpe: accumulate d0 lower and *= bpe into Cin addr
v_cndmask_b32 v9, -1, v9, s[58:59]                 // LDC clip if OOB. offset
s_mul_i32 s54, s[sgprStrideC1J], 32                // scale StrideC *= numRows(32) * bpe
s_add_u32  s[sgprSrdC+0], s[sgprSrdC+0], s54       // incToNextRow: gra SRD += inc(lower)
s_addc_u32  s[sgprSrdC+1], s[sgprSrdC+1], 0        // incToNextRow: gra SRD += inc(upper)
buffer_load_ubyte v17, v9, s[sgprSrdC:sgprSrdC+3], 0, offen offset:0 // load C for beta calc
_v_add_lshl_u32 v9, v3, v0, 0x0                    // scaleToBpe: accumulate d0 lower and *= bpe into Cin addr
v_cndmask_b32 v9, -1, v9, s[58:59]                 // LDD clip if OOB. offset
/* (d1,vc1,d0,vc0)=(6,0,0,1) */
_v_add_co_u32 v10, vcc, v0, 1                      // coord0.1: coord0 += d0*sg0*VW + vc0
v_cmp_lt_u32 s[54:55], v10, s[sgprSizeI]           // coord0 < size0
v_cmp_lt_u32 s[58:59], v1, s[sgprSizeJ]            // coord1 < size1
s_and_b64 s[58:59], s[54:55], s[58:59]             // in0 && in1
_v_add_lshl_u32 v19, v2, v10, 0x0                  // scaleToBpe: accumulate d0 lower and *= bpe into Cin addr
v_cndmask_b32 v19, -1, v19, s[58:59]               // LDC clip if OOB. offset
buffer_load_ubyte v20, v19, s[sgprSrdC:sgprSrdC+3], 0, offen offset:0 // load C for beta calc
_v_add_lshl_u32 v19, v3, v10, 0x0                  // scaleToBpe: accumulate d0 lower and *= bpe into Cin addr
v_cndmask_b32 v19, -1, v19, s[58:59]               // LDD clip if OOB. offset
/* (d1,vc1,d0,vc0)=(6,0,0,2) */
_v_add_co_u32 v10, vcc, v0, 2                      // coord0.1: coord0 += d0*sg0*VW + vc0
v_cmp_lt_u32 s[54:55], v10, s[sgprSizeI]           // coord0 < size0
v_cmp_lt_u32 s[58:59], v1, s[sgprSizeJ]            // coord1 < size1
s_and_b64 s[58:59], s[54:55], s[58:59]             // in0 && in1
_v_add_lshl_u32 v22, v2, v10, 0x0                  // scaleToBpe: accumulate d0 lower and *= bpe into Cin addr
v_cndmask_b32 v22, -1, v22, s[58:59]               // LDC clip if OOB. offset
buffer_load_ubyte v23, v22, s[sgprSrdC:sgprSrdC+3], 0, offen offset:0 // load C for beta calc
_v_add_lshl_u32 v22, v3, v10, 0x0                  // scaleToBpe: accumulate d0 lower and *= bpe into Cin addr
v_cndmask_b32 v22, -1, v22, s[58:59]               // LDD clip if OOB. offset
	;; [unrolled: 10-line block ×5, first 2 shown]
/* (d1,vc1,d0,vc0)=(6,0,1,2) */
_v_add_co_u32 v10, vcc, v0, 10                     // coord0.1: coord0 += d0*sg0*VW + vc0
v_cmp_lt_u32 s[54:55], v10, s[sgprSizeI]           // coord0 < size0
v_cmp_lt_u32 s[58:59], v1, s[sgprSizeJ]            // coord1 < size1
s_and_b64 s[58:59], s[54:55], s[58:59]             // in0 && in1
_v_add_lshl_u32 v34, v2, v10, 0x0                  // scaleToBpe: accumulate d0 lower and *= bpe into Cin addr
v_cndmask_b32 v34, -1, v34, s[58:59]               // LDC clip if OOB. offset
buffer_load_ubyte v35, v34, s[sgprSrdC:sgprSrdC+3], 0, offen offset:0 // load C for beta calc
_v_add_lshl_u32 v34, v3, v10, 0x0                  // scaleToBpe: accumulate d0 lower and *= bpe into Cin addr
v_cndmask_b32 v34, -1, v34, s[58:59]               // LDD clip if OOB. offset
/* (d1,vc1,d0,vc0)=(6,0,1,3) */
_v_add_co_u32 v10, vcc, v0, 11                     // coord0.1: coord0 += d0*sg0*VW + vc0
v_cmp_lt_u32 s[54:55], v10, s[sgprSizeI]           // coord0 < size0
v_cmp_lt_u32 s[58:59], v1, s[sgprSizeJ]            // coord1 < size1
s_and_b64 s[58:59], s[54:55], s[58:59]             // in0 && in1
_v_add_lshl_u32 v37, v2, v10, 0x0                  // scaleToBpe: accumulate d0 lower and *= bpe into Cin addr
v_cndmask_b32 v37, -1, v37, s[58:59]               // LDC clip if OOB. offset
buffer_load_ubyte v38, v37, s[sgprSrdC:sgprSrdC+3], 0, offen offset:0 // load C for beta calc
_v_add_lshl_u32 v37, v3, v10, 0x0                  // scaleToBpe: accumulate d0 lower and *= bpe into Cin addr
v_cndmask_b32 v37, -1, v37, s[58:59]               // LDD clip if OOB. offset
v_accvgpr_read_b32 v[vgprValuC+18], acc192 // copy acc to vreg[192]
v_accvgpr_read_b32 v[vgprValuC+21], acc193 // copy acc to vreg[193]
v_accvgpr_read_b32 v[vgprValuC+24], acc194 // copy acc to vreg[194]
v_accvgpr_read_b32 v[vgprValuC+27], acc195 // copy acc to vreg[195]
v_accvgpr_read_b32 v[vgprValuC+30], acc196 // copy acc to vreg[196]
v_accvgpr_read_b32 v[vgprValuC+33], acc197 // copy acc to vreg[197]
v_accvgpr_read_b32 v[vgprValuC+36], acc198 // copy acc to vreg[198]
v_accvgpr_read_b32 v[vgprValuC+39], acc199 // copy acc to vreg[199]
s_nop 1                                            // 2 wait states required before reading vgpr

/* rC *= alpha batchElements=[(6, 0, 0, 0), (6, 0, 0, 1), (6, 0, 0, 2), (6, 0, 0, 3), (6, 1, 0, 0), (6, 1, 0, 1), (6, 1, 0, 2), (6, 1, 0, 3)] */
v_mul_f32 v[vgprValuC+18], s[sgprAlpha], v[vgprValuC+18] // *= alpha
v_mul_f32 v[vgprValuC+21], s[sgprAlpha], v[vgprValuC+21] // *= alpha
	;; [unrolled: 1-line block ×8, first 2 shown]
s_waitcnt vmcnt(0)                                 // wait C

/* apply mask, calc new C and issue writes */
v_mov_b32 v16, 0x207                               // flag for Nan and +/- inf
v_mov_b32 v14, 0x43700000                          // save 240.0f as max for clipping
v_mov_b32 v15, 0xC3700000                          // save -240.0f as min for clipping

/* StoreRemap: shift coord1 address */
s_mul_i32 s54, s[sgprStrideD1J], 32                // scale StrideD *= numRows(32) * bpe
s_add_u32  s[sgprSrdD+0], s[sgprSrdD+0], s54       // incToNextRow: gra SRD += inc(lower)
s_addc_u32  s[sgprSrdD+1], s[sgprSrdD+1], 0        // incToNextRow: gra SRD += inc(upper)
v_mov_b32 v10, 32                                  // set shift rows
_v_add_u32 v5, v5, v10                             // shift storeRemap coord1
v_cvt_f32_fp8 v12, v17 src0_sel:BYTE_0   // convert fp8 in lo_byte[0] to f32
_v_mac_f32 v[vgprValuC+18], v12, s[sgprBeta]       // finalSum = sum*alpha + C*beta
v_cmp_class_f32 s[54:55], v[vgprValuC+18], v16     // check NaN and +/-INF
v_med3_f32 v12, v[vgprValuC+18], v14, v15          // Clipping f32 value if exceeds the limit
v_cndmask_b32 v12, v12, v[vgprValuC+18], s[54:55]  // 
v_cvt_pk_fp8_f32  v18, v12, v12                    // convert f32 accumulated values to fp8
ds_write_b8 v7, v18, offset:0                      // storeRemap lw
v_cvt_f32_fp8 v12, v20 src0_sel:BYTE_0   // convert fp8 in lo_byte[0] to f32
_v_mac_f32 v[vgprValuC+21], v12, s[sgprBeta]       // finalSum = sum*alpha + C*beta
v_cmp_class_f32 s[54:55], v[vgprValuC+21], v16     // check NaN and +/-INF
v_med3_f32 v12, v[vgprValuC+21], v14, v15          // Clipping f32 value if exceeds the limit
v_cndmask_b32 v12, v12, v[vgprValuC+21], s[54:55]  // 
v_cvt_pk_fp8_f32  v21, v12, v12                    // convert f32 accumulated values to fp8
ds_write_b8 v7, v21, offset:1                      // storeRemap lw
v_cvt_f32_fp8 v12, v23 src0_sel:BYTE_0   // convert fp8 in lo_byte[0] to f32
_v_mac_f32 v[vgprValuC+24], v12, s[sgprBeta]       // finalSum = sum*alpha + C*beta
v_cmp_class_f32 s[54:55], v[vgprValuC+24], v16     // check NaN and +/-INF
v_med3_f32 v12, v[vgprValuC+24], v14, v15          // Clipping f32 value if exceeds the limit
v_cndmask_b32 v12, v12, v[vgprValuC+24], s[54:55]  // 
v_cvt_pk_fp8_f32  v24, v12, v12                    // convert f32 accumulated values to fp8
ds_write_b8 v7, v24, offset:2                      // storeRemap lw
v_cvt_f32_fp8 v12, v26 src0_sel:BYTE_0   // convert fp8 in lo_byte[0] to f32
_v_mac_f32 v[vgprValuC+27], v12, s[sgprBeta]       // finalSum = sum*alpha + C*beta
v_cmp_class_f32 s[54:55], v[vgprValuC+27], v16     // check NaN and +/-INF
v_med3_f32 v12, v[vgprValuC+27], v14, v15          // Clipping f32 value if exceeds the limit
v_cndmask_b32 v12, v12, v[vgprValuC+27], s[54:55]  // 
v_cvt_pk_fp8_f32  v27, v12, v12                    // convert f32 accumulated values to fp8
ds_write_b8 v7, v27, offset:3                      // storeRemap lw
v_cvt_f32_fp8 v12, v29 src0_sel:BYTE_0   // convert fp8 in lo_byte[0] to f32
_v_mac_f32 v[vgprValuC+30], v12, s[sgprBeta]       // finalSum = sum*alpha + C*beta
v_cmp_class_f32 s[54:55], v[vgprValuC+30], v16     // check NaN and +/-INF
v_med3_f32 v12, v[vgprValuC+30], v14, v15          // Clipping f32 value if exceeds the limit
v_cndmask_b32 v12, v12, v[vgprValuC+30], s[54:55]  // 
v_cvt_pk_fp8_f32  v30, v12, v12                    // convert f32 accumulated values to fp8
ds_write_b8 v7, v30, offset:8                      // storeRemap lw
v_cvt_f32_fp8 v12, v32 src0_sel:BYTE_0   // convert fp8 in lo_byte[0] to f32
_v_mac_f32 v[vgprValuC+33], v12, s[sgprBeta]       // finalSum = sum*alpha + C*beta
v_cmp_class_f32 s[54:55], v[vgprValuC+33], v16     // check NaN and +/-INF
v_med3_f32 v12, v[vgprValuC+33], v14, v15          // Clipping f32 value if exceeds the limit
v_cndmask_b32 v12, v12, v[vgprValuC+33], s[54:55]  // 
v_cvt_pk_fp8_f32  v33, v12, v12                    // convert f32 accumulated values to fp8
ds_write_b8 v7, v33, offset:9                      // storeRemap lw
v_cvt_f32_fp8 v12, v35 src0_sel:BYTE_0   // convert fp8 in lo_byte[0] to f32
_v_mac_f32 v[vgprValuC+36], v12, s[sgprBeta]       // finalSum = sum*alpha + C*beta
v_cmp_class_f32 s[54:55], v[vgprValuC+36], v16     // check NaN and +/-INF
v_med3_f32 v12, v[vgprValuC+36], v14, v15          // Clipping f32 value if exceeds the limit
v_cndmask_b32 v12, v12, v[vgprValuC+36], s[54:55]  // 
v_cvt_pk_fp8_f32  v36, v12, v12                    // convert f32 accumulated values to fp8
ds_write_b8 v7, v36, offset:10                     // storeRemap lw
v_cvt_f32_fp8 v12, v38 src0_sel:BYTE_0   // convert fp8 in lo_byte[0] to f32
_v_mac_f32 v[vgprValuC+39], v12, s[sgprBeta]       // finalSum = sum*alpha + C*beta
v_cmp_class_f32 s[54:55], v[vgprValuC+39], v16     // check NaN and +/-INF
v_med3_f32 v12, v[vgprValuC+39], v14, v15          // Clipping f32 value if exceeds the limit
v_cndmask_b32 v12, v12, v[vgprValuC+39], s[54:55]  // 
v_cvt_pk_fp8_f32  v39, v12, v12                    // convert f32 accumulated values to fp8
ds_write_b8 v7, v39, offset:11                     // storeRemap lw
s_nop 0                                            // 1 wait state required when next inst writes vgprs held by previous dwordx4 store inst
/* optSingleColVgpr=0 optSharedColVgpr=0 optSGPRUsage=BufferLoad_Edge_Mask optSrdIncForRow=1 */

/******************************************/
/* Global Write Alpha Beta Edge Batch #25 (d1,d0,vc1,vc0) = */
/*    (6,2,0,0:vw1); (6,2,0,1:vw1); (6,2,0,2:vw1); (6,2,0,3:vw1); (6,3,0,0:vw1); (6,3,0,1:vw1); (6,3,0,2:vw1); (6,3,0,3:vw1) */
/******************************************/

/* calc coords, apply mask, and issue loads (if necessary) */
/* (d1,vc1,d0,vc0)=(6,0,2,0) */
_v_add_co_u32 v10, vcc, v0, 16                     // coord0.1: coord0 += d0*sg0*VW + vc0
v_cmp_lt_u32 s[54:55], v10, s[sgprSizeI]           // coord0 < size0
v_cmp_lt_u32 s[58:59], v1, s[sgprSizeJ]            // coord1 < size1
s_and_b64 s[58:59], s[54:55], s[58:59]             // in0 && in1
_v_add_lshl_u32 v9, v2, v10, 0x0                   // scaleToBpe: accumulate d0 lower and *= bpe into Cin addr
v_cndmask_b32 v9, -1, v9, s[58:59]                 // LDC clip if OOB. offset
buffer_load_ubyte v17, v9, s[sgprSrdC:sgprSrdC+3], 0, offen offset:0 // load C for beta calc
_v_add_lshl_u32 v9, v3, v10, 0x0                   // scaleToBpe: accumulate d0 lower and *= bpe into Cin addr
v_cndmask_b32 v9, -1, v9, s[58:59]                 // LDD clip if OOB. offset
/* (d1,vc1,d0,vc0)=(6,0,2,1) */
_v_add_co_u32 v10, vcc, v0, 17                     // coord0.1: coord0 += d0*sg0*VW + vc0
v_cmp_lt_u32 s[54:55], v10, s[sgprSizeI]           // coord0 < size0
v_cmp_lt_u32 s[58:59], v1, s[sgprSizeJ]            // coord1 < size1
s_and_b64 s[58:59], s[54:55], s[58:59]             // in0 && in1
_v_add_lshl_u32 v19, v2, v10, 0x0                  // scaleToBpe: accumulate d0 lower and *= bpe into Cin addr
v_cndmask_b32 v19, -1, v19, s[58:59]               // LDC clip if OOB. offset
buffer_load_ubyte v20, v19, s[sgprSrdC:sgprSrdC+3], 0, offen offset:0 // load C for beta calc
_v_add_lshl_u32 v19, v3, v10, 0x0                  // scaleToBpe: accumulate d0 lower and *= bpe into Cin addr
v_cndmask_b32 v19, -1, v19, s[58:59]               // LDD clip if OOB. offset
/* (d1,vc1,d0,vc0)=(6,0,2,2) */
_v_add_co_u32 v10, vcc, v0, 18                     // coord0.1: coord0 += d0*sg0*VW + vc0
v_cmp_lt_u32 s[54:55], v10, s[sgprSizeI]           // coord0 < size0
v_cmp_lt_u32 s[58:59], v1, s[sgprSizeJ]            // coord1 < size1
s_and_b64 s[58:59], s[54:55], s[58:59]             // in0 && in1
_v_add_lshl_u32 v22, v2, v10, 0x0                  // scaleToBpe: accumulate d0 lower and *= bpe into Cin addr
v_cndmask_b32 v22, -1, v22, s[58:59]               // LDC clip if OOB. offset
buffer_load_ubyte v23, v22, s[sgprSrdC:sgprSrdC+3], 0, offen offset:0 // load C for beta calc
_v_add_lshl_u32 v22, v3, v10, 0x0                  // scaleToBpe: accumulate d0 lower and *= bpe into Cin addr
v_cndmask_b32 v22, -1, v22, s[58:59]               // LDD clip if OOB. offset
	;; [unrolled: 10-line block ×7, first 2 shown]
v_accvgpr_read_b32 v[vgprValuC+18], acc200 // copy acc to vreg[200]
v_accvgpr_read_b32 v[vgprValuC+21], acc201 // copy acc to vreg[201]
v_accvgpr_read_b32 v[vgprValuC+24], acc202 // copy acc to vreg[202]
v_accvgpr_read_b32 v[vgprValuC+27], acc203 // copy acc to vreg[203]
v_accvgpr_read_b32 v[vgprValuC+30], acc204 // copy acc to vreg[204]
v_accvgpr_read_b32 v[vgprValuC+33], acc205 // copy acc to vreg[205]
v_accvgpr_read_b32 v[vgprValuC+36], acc206 // copy acc to vreg[206]
v_accvgpr_read_b32 v[vgprValuC+39], acc207 // copy acc to vreg[207]
s_nop 1                                            // 2 wait states required before reading vgpr

/* rC *= alpha batchElements=[(6, 2, 0, 0), (6, 2, 0, 1), (6, 2, 0, 2), (6, 2, 0, 3), (6, 3, 0, 0), (6, 3, 0, 1), (6, 3, 0, 2), (6, 3, 0, 3)] */
v_mul_f32 v[vgprValuC+18], s[sgprAlpha], v[vgprValuC+18] // *= alpha
v_mul_f32 v[vgprValuC+21], s[sgprAlpha], v[vgprValuC+21] // *= alpha
	;; [unrolled: 1-line block ×8, first 2 shown]
s_waitcnt vmcnt(0)                                 // wait C

/* apply mask, calc new C and issue writes */
v_mov_b32 v16, 0x207                               // flag for Nan and +/- inf
v_mov_b32 v14, 0x43700000                          // save 240.0f as max for clipping
v_mov_b32 v15, 0xC3700000                          // save -240.0f as min for clipping
v_cvt_f32_fp8 v12, v17 src0_sel:BYTE_0   // convert fp8 in lo_byte[0] to f32
_v_mac_f32 v[vgprValuC+18], v12, s[sgprBeta]       // finalSum = sum*alpha + C*beta
v_cmp_class_f32 s[54:55], v[vgprValuC+18], v16     // check NaN and +/-INF
v_med3_f32 v12, v[vgprValuC+18], v14, v15          // Clipping f32 value if exceeds the limit
v_cndmask_b32 v12, v12, v[vgprValuC+18], s[54:55]  // 
v_cvt_pk_fp8_f32  v18, v12, v12                    // convert f32 accumulated values to fp8
ds_write_b8 v7, v18, offset:16                     // storeRemap lw
v_cvt_f32_fp8 v12, v20 src0_sel:BYTE_0   // convert fp8 in lo_byte[0] to f32
_v_mac_f32 v[vgprValuC+21], v12, s[sgprBeta]       // finalSum = sum*alpha + C*beta
v_cmp_class_f32 s[54:55], v[vgprValuC+21], v16     // check NaN and +/-INF
v_med3_f32 v12, v[vgprValuC+21], v14, v15          // Clipping f32 value if exceeds the limit
v_cndmask_b32 v12, v12, v[vgprValuC+21], s[54:55]  // 
v_cvt_pk_fp8_f32  v21, v12, v12                    // convert f32 accumulated values to fp8
ds_write_b8 v7, v21, offset:17                     // storeRemap lw
v_cvt_f32_fp8 v12, v23 src0_sel:BYTE_0   // convert fp8 in lo_byte[0] to f32
_v_mac_f32 v[vgprValuC+24], v12, s[sgprBeta]       // finalSum = sum*alpha + C*beta
v_cmp_class_f32 s[54:55], v[vgprValuC+24], v16     // check NaN and +/-INF
v_med3_f32 v12, v[vgprValuC+24], v14, v15          // Clipping f32 value if exceeds the limit
v_cndmask_b32 v12, v12, v[vgprValuC+24], s[54:55]  // 
v_cvt_pk_fp8_f32  v24, v12, v12                    // convert f32 accumulated values to fp8
ds_write_b8 v7, v24, offset:18                     // storeRemap lw
v_cvt_f32_fp8 v12, v26 src0_sel:BYTE_0   // convert fp8 in lo_byte[0] to f32
_v_mac_f32 v[vgprValuC+27], v12, s[sgprBeta]       // finalSum = sum*alpha + C*beta
v_cmp_class_f32 s[54:55], v[vgprValuC+27], v16     // check NaN and +/-INF
v_med3_f32 v12, v[vgprValuC+27], v14, v15          // Clipping f32 value if exceeds the limit
v_cndmask_b32 v12, v12, v[vgprValuC+27], s[54:55]  // 
v_cvt_pk_fp8_f32  v27, v12, v12                    // convert f32 accumulated values to fp8
ds_write_b8 v7, v27, offset:19                     // storeRemap lw
v_cvt_f32_fp8 v12, v29 src0_sel:BYTE_0   // convert fp8 in lo_byte[0] to f32
_v_mac_f32 v[vgprValuC+30], v12, s[sgprBeta]       // finalSum = sum*alpha + C*beta
v_cmp_class_f32 s[54:55], v[vgprValuC+30], v16     // check NaN and +/-INF
v_med3_f32 v12, v[vgprValuC+30], v14, v15          // Clipping f32 value if exceeds the limit
v_cndmask_b32 v12, v12, v[vgprValuC+30], s[54:55]  // 
v_cvt_pk_fp8_f32  v30, v12, v12                    // convert f32 accumulated values to fp8
ds_write_b8 v7, v30, offset:24                     // storeRemap lw
v_cvt_f32_fp8 v12, v32 src0_sel:BYTE_0   // convert fp8 in lo_byte[0] to f32
_v_mac_f32 v[vgprValuC+33], v12, s[sgprBeta]       // finalSum = sum*alpha + C*beta
v_cmp_class_f32 s[54:55], v[vgprValuC+33], v16     // check NaN and +/-INF
v_med3_f32 v12, v[vgprValuC+33], v14, v15          // Clipping f32 value if exceeds the limit
v_cndmask_b32 v12, v12, v[vgprValuC+33], s[54:55]  // 
v_cvt_pk_fp8_f32  v33, v12, v12                    // convert f32 accumulated values to fp8
ds_write_b8 v7, v33, offset:25                     // storeRemap lw
v_cvt_f32_fp8 v12, v35 src0_sel:BYTE_0   // convert fp8 in lo_byte[0] to f32
_v_mac_f32 v[vgprValuC+36], v12, s[sgprBeta]       // finalSum = sum*alpha + C*beta
v_cmp_class_f32 s[54:55], v[vgprValuC+36], v16     // check NaN and +/-INF
v_med3_f32 v12, v[vgprValuC+36], v14, v15          // Clipping f32 value if exceeds the limit
v_cndmask_b32 v12, v12, v[vgprValuC+36], s[54:55]  // 
v_cvt_pk_fp8_f32  v36, v12, v12                    // convert f32 accumulated values to fp8
ds_write_b8 v7, v36, offset:26                     // storeRemap lw
v_cvt_f32_fp8 v12, v38 src0_sel:BYTE_0   // convert fp8 in lo_byte[0] to f32
_v_mac_f32 v[vgprValuC+39], v12, s[sgprBeta]       // finalSum = sum*alpha + C*beta
v_cmp_class_f32 s[54:55], v[vgprValuC+39], v16     // check NaN and +/-INF
v_med3_f32 v12, v[vgprValuC+39], v14, v15          // Clipping f32 value if exceeds the limit
v_cndmask_b32 v12, v12, v[vgprValuC+39], s[54:55]  // 
v_cvt_pk_fp8_f32  v39, v12, v12                    // convert f32 accumulated values to fp8
ds_write_b8 v7, v39, offset:27                     // storeRemap lw
s_nop 0                                            // 1 wait state required when next inst writes vgprs held by previous dwordx4 store inst
/* optSingleColVgpr=0 optSharedColVgpr=0 optSGPRUsage=BufferLoad_Edge_Mask optSrdIncForRow=1 */

/******************************************/
/* Global Write Alpha Beta Edge Batch #26 (d1,d0,vc1,vc0) = */
/*    (6,4,0,0:vw1); (6,4,0,1:vw1); (6,4,0,2:vw1); (6,4,0,3:vw1); (6,5,0,0:vw1); (6,5,0,1:vw1); (6,5,0,2:vw1); (6,5,0,3:vw1) */
/******************************************/

/* calc coords, apply mask, and issue loads (if necessary) */
/* (d1,vc1,d0,vc0)=(6,0,4,0) */
s_mov_b32 s54, 128                                 // coordOffset0 d0=4 vc0=0
_v_add_co_u32 v10, vcc, v0, s54                    // coord0.2: coord0 += d0*sg0*VW + vc0
v_cmp_lt_u32 s[54:55], v10, s[sgprSizeI]           // coord0 < size0
v_cmp_lt_u32 s[58:59], v1, s[sgprSizeJ]            // coord1 < size1
s_and_b64 s[58:59], s[54:55], s[58:59]             // in0 && in1
_v_add_lshl_u32 v9, v2, v10, 0x0                   // scaleToBpe: accumulate d0 lower and *= bpe into Cin addr
v_cndmask_b32 v9, -1, v9, s[58:59]                 // LDC clip if OOB. offset
buffer_load_ubyte v17, v9, s[sgprSrdC:sgprSrdC+3], 0, offen offset:0 // load C for beta calc
_v_add_lshl_u32 v9, v3, v10, 0x0                   // scaleToBpe: accumulate d0 lower and *= bpe into Cin addr
v_cndmask_b32 v9, -1, v9, s[58:59]                 // LDD clip if OOB. offset
/* (d1,vc1,d0,vc0)=(6,0,4,1) */
s_mov_b32 s54, 129                                 // coordOffset0 d0=4 vc0=1
_v_add_co_u32 v10, vcc, v0, s54                    // coord0.2: coord0 += d0*sg0*VW + vc0
v_cmp_lt_u32 s[54:55], v10, s[sgprSizeI]           // coord0 < size0
v_cmp_lt_u32 s[58:59], v1, s[sgprSizeJ]            // coord1 < size1
s_and_b64 s[58:59], s[54:55], s[58:59]             // in0 && in1
_v_add_lshl_u32 v19, v2, v10, 0x0                  // scaleToBpe: accumulate d0 lower and *= bpe into Cin addr
v_cndmask_b32 v19, -1, v19, s[58:59]               // LDC clip if OOB. offset
buffer_load_ubyte v20, v19, s[sgprSrdC:sgprSrdC+3], 0, offen offset:0 // load C for beta calc
_v_add_lshl_u32 v19, v3, v10, 0x0                  // scaleToBpe: accumulate d0 lower and *= bpe into Cin addr
v_cndmask_b32 v19, -1, v19, s[58:59]               // LDD clip if OOB. offset
/* (d1,vc1,d0,vc0)=(6,0,4,2) */
s_mov_b32 s54, 130                                 // coordOffset0 d0=4 vc0=2
_v_add_co_u32 v10, vcc, v0, s54                    // coord0.2: coord0 += d0*sg0*VW + vc0
v_cmp_lt_u32 s[54:55], v10, s[sgprSizeI]           // coord0 < size0
v_cmp_lt_u32 s[58:59], v1, s[sgprSizeJ]            // coord1 < size1
s_and_b64 s[58:59], s[54:55], s[58:59]             // in0 && in1
_v_add_lshl_u32 v22, v2, v10, 0x0                  // scaleToBpe: accumulate d0 lower and *= bpe into Cin addr
v_cndmask_b32 v22, -1, v22, s[58:59]               // LDC clip if OOB. offset
buffer_load_ubyte v23, v22, s[sgprSrdC:sgprSrdC+3], 0, offen offset:0 // load C for beta calc
_v_add_lshl_u32 v22, v3, v10, 0x0                  // scaleToBpe: accumulate d0 lower and *= bpe into Cin addr
v_cndmask_b32 v22, -1, v22, s[58:59]               // LDD clip if OOB. offset
	;; [unrolled: 11-line block ×7, first 2 shown]
v_accvgpr_read_b32 v[vgprValuC+18], acc208 // copy acc to vreg[208]
v_accvgpr_read_b32 v[vgprValuC+21], acc209 // copy acc to vreg[209]
v_accvgpr_read_b32 v[vgprValuC+24], acc210 // copy acc to vreg[210]
v_accvgpr_read_b32 v[vgprValuC+27], acc211 // copy acc to vreg[211]
v_accvgpr_read_b32 v[vgprValuC+30], acc212 // copy acc to vreg[212]
v_accvgpr_read_b32 v[vgprValuC+33], acc213 // copy acc to vreg[213]
v_accvgpr_read_b32 v[vgprValuC+36], acc214 // copy acc to vreg[214]
v_accvgpr_read_b32 v[vgprValuC+39], acc215 // copy acc to vreg[215]
s_nop 1                                            // 2 wait states required before reading vgpr

/* rC *= alpha batchElements=[(6, 4, 0, 0), (6, 4, 0, 1), (6, 4, 0, 2), (6, 4, 0, 3), (6, 5, 0, 0), (6, 5, 0, 1), (6, 5, 0, 2), (6, 5, 0, 3)] */
v_mul_f32 v[vgprValuC+18], s[sgprAlpha], v[vgprValuC+18] // *= alpha
v_mul_f32 v[vgprValuC+21], s[sgprAlpha], v[vgprValuC+21] // *= alpha
v_mul_f32 v[vgprValuC+24], s[sgprAlpha], v[vgprValuC+24] // *= alpha
v_mul_f32 v[vgprValuC+27], s[sgprAlpha], v[vgprValuC+27] // *= alpha
v_mul_f32 v[vgprValuC+30], s[sgprAlpha], v[vgprValuC+30] // *= alpha
v_mul_f32 v[vgprValuC+33], s[sgprAlpha], v[vgprValuC+33] // *= alpha
v_mul_f32 v[vgprValuC+36], s[sgprAlpha], v[vgprValuC+36] // *= alpha
v_mul_f32 v[vgprValuC+39], s[sgprAlpha], v[vgprValuC+39] // *= alpha
s_waitcnt vmcnt(0)                                 // wait C

/* apply mask, calc new C and issue writes */
v_mov_b32 v16, 0x207                               // flag for Nan and +/- inf
v_mov_b32 v14, 0x43700000                          // save 240.0f as max for clipping
v_mov_b32 v15, 0xC3700000                          // save -240.0f as min for clipping
v_cvt_f32_fp8 v12, v17 src0_sel:BYTE_0   // convert fp8 in lo_byte[0] to f32
_v_mac_f32 v[vgprValuC+18], v12, s[sgprBeta]       // finalSum = sum*alpha + C*beta
v_cmp_class_f32 s[54:55], v[vgprValuC+18], v16     // check NaN and +/-INF
v_med3_f32 v12, v[vgprValuC+18], v14, v15          // Clipping f32 value if exceeds the limit
v_cndmask_b32 v12, v12, v[vgprValuC+18], s[54:55]  // 
v_cvt_pk_fp8_f32  v18, v12, v12                    // convert f32 accumulated values to fp8
ds_write_b8 v7, v18, offset:128                    // storeRemap lw
v_cvt_f32_fp8 v12, v20 src0_sel:BYTE_0   // convert fp8 in lo_byte[0] to f32
_v_mac_f32 v[vgprValuC+21], v12, s[sgprBeta]       // finalSum = sum*alpha + C*beta
v_cmp_class_f32 s[54:55], v[vgprValuC+21], v16     // check NaN and +/-INF
v_med3_f32 v12, v[vgprValuC+21], v14, v15          // Clipping f32 value if exceeds the limit
v_cndmask_b32 v12, v12, v[vgprValuC+21], s[54:55]  // 
v_cvt_pk_fp8_f32  v21, v12, v12                    // convert f32 accumulated values to fp8
ds_write_b8 v7, v21, offset:129                    // storeRemap lw
	;; [unrolled: 7-line block ×8, first 2 shown]
s_nop 0                                            // 1 wait state required when next inst writes vgprs held by previous dwordx4 store inst
/* optSingleColVgpr=0 optSharedColVgpr=0 optSGPRUsage=BufferLoad_Edge_Mask optSrdIncForRow=1 */

/******************************************/
/* Global Write Alpha Beta Edge Batch #27 (d1,d0,vc1,vc0) = */
/*    (6,6,0,0:vw1); (6,6,0,1:vw1); (6,6,0,2:vw1); (6,6,0,3:vw1); (6,7,0,0:vw1); (6,7,0,1:vw1); (6,7,0,2:vw1); (6,7,0,3:vw1) */
/******************************************/

/* calc coords, apply mask, and issue loads (if necessary) */
/* (d1,vc1,d0,vc0)=(6,0,6,0) */
s_mov_b32 s54, 144                                 // coordOffset0 d0=6 vc0=0
_v_add_co_u32 v10, vcc, v0, s54                    // coord0.2: coord0 += d0*sg0*VW + vc0
v_cmp_lt_u32 s[54:55], v10, s[sgprSizeI]           // coord0 < size0
v_cmp_lt_u32 s[58:59], v1, s[sgprSizeJ]            // coord1 < size1
s_and_b64 s[58:59], s[54:55], s[58:59]             // in0 && in1
_v_add_lshl_u32 v9, v2, v10, 0x0                   // scaleToBpe: accumulate d0 lower and *= bpe into Cin addr
v_cndmask_b32 v9, -1, v9, s[58:59]                 // LDC clip if OOB. offset
buffer_load_ubyte v17, v9, s[sgprSrdC:sgprSrdC+3], 0, offen offset:0 // load C for beta calc
_v_add_lshl_u32 v9, v3, v10, 0x0                   // scaleToBpe: accumulate d0 lower and *= bpe into Cin addr
v_cndmask_b32 v9, -1, v9, s[58:59]                 // LDD clip if OOB. offset
/* (d1,vc1,d0,vc0)=(6,0,6,1) */
s_mov_b32 s54, 145                                 // coordOffset0 d0=6 vc0=1
_v_add_co_u32 v10, vcc, v0, s54                    // coord0.2: coord0 += d0*sg0*VW + vc0
v_cmp_lt_u32 s[54:55], v10, s[sgprSizeI]           // coord0 < size0
v_cmp_lt_u32 s[58:59], v1, s[sgprSizeJ]            // coord1 < size1
s_and_b64 s[58:59], s[54:55], s[58:59]             // in0 && in1
_v_add_lshl_u32 v19, v2, v10, 0x0                  // scaleToBpe: accumulate d0 lower and *= bpe into Cin addr
v_cndmask_b32 v19, -1, v19, s[58:59]               // LDC clip if OOB. offset
buffer_load_ubyte v20, v19, s[sgprSrdC:sgprSrdC+3], 0, offen offset:0 // load C for beta calc
_v_add_lshl_u32 v19, v3, v10, 0x0                  // scaleToBpe: accumulate d0 lower and *= bpe into Cin addr
v_cndmask_b32 v19, -1, v19, s[58:59]               // LDD clip if OOB. offset
/* (d1,vc1,d0,vc0)=(6,0,6,2) */
s_mov_b32 s54, 146                                 // coordOffset0 d0=6 vc0=2
_v_add_co_u32 v10, vcc, v0, s54                    // coord0.2: coord0 += d0*sg0*VW + vc0
v_cmp_lt_u32 s[54:55], v10, s[sgprSizeI]           // coord0 < size0
v_cmp_lt_u32 s[58:59], v1, s[sgprSizeJ]            // coord1 < size1
s_and_b64 s[58:59], s[54:55], s[58:59]             // in0 && in1
_v_add_lshl_u32 v22, v2, v10, 0x0                  // scaleToBpe: accumulate d0 lower and *= bpe into Cin addr
v_cndmask_b32 v22, -1, v22, s[58:59]               // LDC clip if OOB. offset
buffer_load_ubyte v23, v22, s[sgprSrdC:sgprSrdC+3], 0, offen offset:0 // load C for beta calc
_v_add_lshl_u32 v22, v3, v10, 0x0                  // scaleToBpe: accumulate d0 lower and *= bpe into Cin addr
v_cndmask_b32 v22, -1, v22, s[58:59]               // LDD clip if OOB. offset
/* (d1,vc1,d0,vc0)=(6,0,6,3) */
s_mov_b32 s54, 147                                 // coordOffset0 d0=6 vc0=3
_v_add_co_u32 v10, vcc, v0, s54                    // coord0.2: coord0 += d0*sg0*VW + vc0
v_cmp_lt_u32 s[54:55], v10, s[sgprSizeI]           // coord0 < size0
v_cmp_lt_u32 s[58:59], v1, s[sgprSizeJ]            // coord1 < size1
s_and_b64 s[58:59], s[54:55], s[58:59]             // in0 && in1
_v_add_lshl_u32 v25, v2, v10, 0x0                  // scaleToBpe: accumulate d0 lower and *= bpe into Cin addr
v_cndmask_b32 v25, -1, v25, s[58:59]               // LDC clip if OOB. offset
buffer_load_ubyte v26, v25, s[sgprSrdC:sgprSrdC+3], 0, offen offset:0 // load C for beta calc
_v_add_lshl_u32 v25, v3, v10, 0x0                  // scaleToBpe: accumulate d0 lower and *= bpe into Cin addr
v_cndmask_b32 v25, -1, v25, s[58:59]               // LDD clip if OOB. offset
/* (d1,vc1,d0,vc0)=(6,0,7,0) */
s_mov_b32 s54, 152                                 // coordOffset0 d0=7 vc0=0
_v_add_co_u32 v10, vcc, v0, s54                    // coord0.2: coord0 += d0*sg0*VW + vc0
v_cmp_lt_u32 s[54:55], v10, s[sgprSizeI]           // coord0 < size0
v_cmp_lt_u32 s[58:59], v1, s[sgprSizeJ]            // coord1 < size1
s_and_b64 s[58:59], s[54:55], s[58:59]             // in0 && in1
_v_add_lshl_u32 v28, v2, v10, 0x0                  // scaleToBpe: accumulate d0 lower and *= bpe into Cin addr
v_cndmask_b32 v28, -1, v28, s[58:59]               // LDC clip if OOB. offset
buffer_load_ubyte v29, v28, s[sgprSrdC:sgprSrdC+3], 0, offen offset:0 // load C for beta calc
_v_add_lshl_u32 v28, v3, v10, 0x0                  // scaleToBpe: accumulate d0 lower and *= bpe into Cin addr
v_cndmask_b32 v28, -1, v28, s[58:59]               // LDD clip if OOB. offset
/* (d1,vc1,d0,vc0)=(6,0,7,1) */
s_mov_b32 s54, 153                                 // coordOffset0 d0=7 vc0=1
_v_add_co_u32 v10, vcc, v0, s54                    // coord0.2: coord0 += d0*sg0*VW + vc0
v_cmp_lt_u32 s[54:55], v10, s[sgprSizeI]           // coord0 < size0
v_cmp_lt_u32 s[58:59], v1, s[sgprSizeJ]            // coord1 < size1
s_and_b64 s[58:59], s[54:55], s[58:59]             // in0 && in1
_v_add_lshl_u32 v31, v2, v10, 0x0                  // scaleToBpe: accumulate d0 lower and *= bpe into Cin addr
v_cndmask_b32 v31, -1, v31, s[58:59]               // LDC clip if OOB. offset
buffer_load_ubyte v32, v31, s[sgprSrdC:sgprSrdC+3], 0, offen offset:0 // load C for beta calc
_v_add_lshl_u32 v31, v3, v10, 0x0                  // scaleToBpe: accumulate d0 lower and *= bpe into Cin addr
v_cndmask_b32 v31, -1, v31, s[58:59]               // LDD clip if OOB. offset
/* (d1,vc1,d0,vc0)=(6,0,7,2) */
s_mov_b32 s54, 154                                 // coordOffset0 d0=7 vc0=2
_v_add_co_u32 v10, vcc, v0, s54                    // coord0.2: coord0 += d0*sg0*VW + vc0
v_cmp_lt_u32 s[54:55], v10, s[sgprSizeI]           // coord0 < size0
v_cmp_lt_u32 s[58:59], v1, s[sgprSizeJ]            // coord1 < size1
s_and_b64 s[58:59], s[54:55], s[58:59]             // in0 && in1
_v_add_lshl_u32 v34, v2, v10, 0x0                  // scaleToBpe: accumulate d0 lower and *= bpe into Cin addr
v_cndmask_b32 v34, -1, v34, s[58:59]               // LDC clip if OOB. offset
buffer_load_ubyte v35, v34, s[sgprSrdC:sgprSrdC+3], 0, offen offset:0 // load C for beta calc
_v_add_lshl_u32 v34, v3, v10, 0x0                  // scaleToBpe: accumulate d0 lower and *= bpe into Cin addr
v_cndmask_b32 v34, -1, v34, s[58:59]               // LDD clip if OOB. offset
/* (d1,vc1,d0,vc0)=(6,0,7,3) */
s_mov_b32 s54, 155                                 // coordOffset0 d0=7 vc0=3
_v_add_co_u32 v10, vcc, v0, s54                    // coord0.2: coord0 += d0*sg0*VW + vc0
v_cmp_lt_u32 s[54:55], v10, s[sgprSizeI]           // coord0 < size0
v_cmp_lt_u32 s[58:59], v1, s[sgprSizeJ]            // coord1 < size1
s_and_b64 s[58:59], s[54:55], s[58:59]             // in0 && in1
_v_add_lshl_u32 v37, v2, v10, 0x0                  // scaleToBpe: accumulate d0 lower and *= bpe into Cin addr
v_cndmask_b32 v37, -1, v37, s[58:59]               // LDC clip if OOB. offset
buffer_load_ubyte v38, v37, s[sgprSrdC:sgprSrdC+3], 0, offen offset:0 // load C for beta calc
_v_add_lshl_u32 v37, v3, v10, 0x0                  // scaleToBpe: accumulate d0 lower and *= bpe into Cin addr
v_cndmask_b32 v37, -1, v37, s[58:59]               // LDD clip if OOB. offset
v_accvgpr_read_b32 v[vgprValuC+18], acc216 // copy acc to vreg[216]
v_accvgpr_read_b32 v[vgprValuC+21], acc217 // copy acc to vreg[217]
v_accvgpr_read_b32 v[vgprValuC+24], acc218 // copy acc to vreg[218]
v_accvgpr_read_b32 v[vgprValuC+27], acc219 // copy acc to vreg[219]
v_accvgpr_read_b32 v[vgprValuC+30], acc220 // copy acc to vreg[220]
v_accvgpr_read_b32 v[vgprValuC+33], acc221 // copy acc to vreg[221]
v_accvgpr_read_b32 v[vgprValuC+36], acc222 // copy acc to vreg[222]
v_accvgpr_read_b32 v[vgprValuC+39], acc223 // copy acc to vreg[223]
s_nop 1                                            // 2 wait states required before reading vgpr

/* rC *= alpha batchElements=[(6, 6, 0, 0), (6, 6, 0, 1), (6, 6, 0, 2), (6, 6, 0, 3), (6, 7, 0, 0), (6, 7, 0, 1), (6, 7, 0, 2), (6, 7, 0, 3)] */
v_mul_f32 v[vgprValuC+18], s[sgprAlpha], v[vgprValuC+18] // *= alpha
v_mul_f32 v[vgprValuC+21], s[sgprAlpha], v[vgprValuC+21] // *= alpha
	;; [unrolled: 1-line block ×8, first 2 shown]
s_waitcnt vmcnt(0)                                 // wait C

/* apply mask, calc new C and issue writes */
v_mov_b32 v16, 0x207                               // flag for Nan and +/- inf
v_mov_b32 v14, 0x43700000                          // save 240.0f as max for clipping
v_mov_b32 v15, 0xC3700000                          // save -240.0f as min for clipping
v_cvt_f32_fp8 v12, v17 src0_sel:BYTE_0   // convert fp8 in lo_byte[0] to f32
_v_mac_f32 v[vgprValuC+18], v12, s[sgprBeta]       // finalSum = sum*alpha + C*beta
v_cmp_class_f32 s[54:55], v[vgprValuC+18], v16     // check NaN and +/-INF
v_med3_f32 v12, v[vgprValuC+18], v14, v15          // Clipping f32 value if exceeds the limit
v_cndmask_b32 v12, v12, v[vgprValuC+18], s[54:55]  // 
v_cvt_pk_fp8_f32  v18, v12, v12                    // convert f32 accumulated values to fp8
ds_write_b8 v7, v18, offset:144                    // storeRemap lw
v_cvt_f32_fp8 v12, v20 src0_sel:BYTE_0   // convert fp8 in lo_byte[0] to f32
_v_mac_f32 v[vgprValuC+21], v12, s[sgprBeta]       // finalSum = sum*alpha + C*beta
v_cmp_class_f32 s[54:55], v[vgprValuC+21], v16     // check NaN and +/-INF
v_med3_f32 v12, v[vgprValuC+21], v14, v15          // Clipping f32 value if exceeds the limit
v_cndmask_b32 v12, v12, v[vgprValuC+21], s[54:55]  // 
v_cvt_pk_fp8_f32  v21, v12, v12                    // convert f32 accumulated values to fp8
ds_write_b8 v7, v21, offset:145                    // storeRemap lw
	;; [unrolled: 7-line block ×8, first 2 shown]

/* Handle local read and global write */
s_waitcnt lgkmcnt(0)                               // wait for LDS write
s_barrier //wait all lds write finished

_ds_load_b128 v[20:23], v8, offset:0               // storeRemap lr
_ds_load_b128 v[24:27], v8, offset:1088            // storeRemap lr

s_waitcnt lgkmcnt(1)                               // wait for LDS read
_v_add_u32 v11, v5, 0                              // coord1 += nColPerLoad
_v_add_u32 v10, v4, 0                              // coord0 += element index of load vector
_v_add_u32 v9, v6, 0                               // offset coord1 += nColPerLoad
v_cmp_lt_u32 s[54:55], v10, s[sgprSizeI]           // coord0 < size0
v_cmp_lt_u32 s[56:57], v11, s[sgprSizeJ]           // coord1 < size1
s_and_b64 s[56:57], s[54:55], s[56:57]             // in0 && in1
v_mul_lo_u32 v9, v9, s[sgprStrideD1J]              // coord1 element offset =  coord1 * StrideD
_v_add_lshl_u32 v9, v9, v10, 0x0                   // scale to BPE
v_cndmask_b32 v9, -1, v9, s[56:57]                 // clip if OOB. offset
buffer_store_byte v20, v9, s[sgprSrdD:sgprSrdD+3], 0, offen, offset:0 // store D
_v_add_u32 v11, v5, 0                              // coord1 += nColPerLoad
_v_add_u32 v10, v4, 1                              // coord0 += element index of load vector
_v_add_u32 v9, v6, 0                               // offset coord1 += nColPerLoad
v_cmp_lt_u32 s[54:55], v10, s[sgprSizeI]           // coord0 < size0
v_cmp_lt_u32 s[56:57], v11, s[sgprSizeJ]           // coord1 < size1
s_and_b64 s[56:57], s[54:55], s[56:57]             // in0 && in1
v_mul_lo_u32 v9, v9, s[sgprStrideD1J]              // coord1 element offset =  coord1 * StrideD
_v_add_lshl_u32 v9, v9, v10, 0x0                   // scale to BPE
v_cndmask_b32 v9, -1, v9, s[56:57]                 // clip if OOB. offset
v_lshrrev_b32 v17, 8, v20                          // vGWTmp = src >> 8
buffer_store_byte v17, v9, s[sgprSrdD:sgprSrdD+3], 0, offen, offset:0 // store D
_v_add_u32 v11, v5, 0                              // coord1 += nColPerLoad
_v_add_u32 v10, v4, 2                              // coord0 += element index of load vector
_v_add_u32 v9, v6, 0                               // offset coord1 += nColPerLoad
v_cmp_lt_u32 s[54:55], v10, s[sgprSizeI]           // coord0 < size0
v_cmp_lt_u32 s[56:57], v11, s[sgprSizeJ]           // coord1 < size1
s_and_b64 s[56:57], s[54:55], s[56:57]             // in0 && in1
v_mul_lo_u32 v9, v9, s[sgprStrideD1J]              // coord1 element offset =  coord1 * StrideD
_v_add_lshl_u32 v9, v9, v10, 0x0                   // scale to BPE
v_cndmask_b32 v9, -1, v9, s[56:57]                 // clip if OOB. offset
buffer_store_byte_d16_hi v20, v9, s[sgprSrdD:sgprSrdD+3], 0, offen, offset:0 // store D
_v_add_u32 v11, v5, 0                              // coord1 += nColPerLoad
_v_add_u32 v10, v4, 3                              // coord0 += element index of load vector
_v_add_u32 v9, v6, 0                               // offset coord1 += nColPerLoad
v_cmp_lt_u32 s[54:55], v10, s[sgprSizeI]           // coord0 < size0
v_cmp_lt_u32 s[56:57], v11, s[sgprSizeJ]           // coord1 < size1
s_and_b64 s[56:57], s[54:55], s[56:57]             // in0 && in1
v_mul_lo_u32 v9, v9, s[sgprStrideD1J]              // coord1 element offset =  coord1 * StrideD
_v_add_lshl_u32 v9, v9, v10, 0x0                   // scale to BPE
v_cndmask_b32 v9, -1, v9, s[56:57]                 // clip if OOB. offset
v_lshrrev_b32 v17, 8, v20                          // vGWTmp = src >> 8
buffer_store_byte_d16_hi v17, v9, s[sgprSrdD:sgprSrdD+3], 0, offen, offset:0 // store D
_v_add_u32 v11, v5, 0                              // coord1 += nColPerLoad
_v_add_u32 v10, v4, 4                              // coord0 += element index of load vector
_v_add_u32 v9, v6, 0                               // offset coord1 += nColPerLoad
v_cmp_lt_u32 s[54:55], v10, s[sgprSizeI]           // coord0 < size0
v_cmp_lt_u32 s[56:57], v11, s[sgprSizeJ]           // coord1 < size1
s_and_b64 s[56:57], s[54:55], s[56:57]             // in0 && in1
v_mul_lo_u32 v9, v9, s[sgprStrideD1J]              // coord1 element offset =  coord1 * StrideD
_v_add_lshl_u32 v9, v9, v10, 0x0                   // scale to BPE
v_cndmask_b32 v9, -1, v9, s[56:57]                 // clip if OOB. offset
buffer_store_byte v21, v9, s[sgprSrdD:sgprSrdD+3], 0, offen, offset:0 // store D
_v_add_u32 v11, v5, 0                              // coord1 += nColPerLoad
_v_add_u32 v10, v4, 5                              // coord0 += element index of load vector
_v_add_u32 v9, v6, 0                               // offset coord1 += nColPerLoad
v_cmp_lt_u32 s[54:55], v10, s[sgprSizeI]           // coord0 < size0
v_cmp_lt_u32 s[56:57], v11, s[sgprSizeJ]           // coord1 < size1
s_and_b64 s[56:57], s[54:55], s[56:57]             // in0 && in1
v_mul_lo_u32 v9, v9, s[sgprStrideD1J]              // coord1 element offset =  coord1 * StrideD
_v_add_lshl_u32 v9, v9, v10, 0x0                   // scale to BPE
v_cndmask_b32 v9, -1, v9, s[56:57]                 // clip if OOB. offset
v_lshrrev_b32 v17, 8, v21                          // vGWTmp = src >> 8
buffer_store_byte v17, v9, s[sgprSrdD:sgprSrdD+3], 0, offen, offset:0 // store D
_v_add_u32 v11, v5, 0                              // coord1 += nColPerLoad
_v_add_u32 v10, v4, 6                              // coord0 += element index of load vector
_v_add_u32 v9, v6, 0                               // offset coord1 += nColPerLoad
v_cmp_lt_u32 s[54:55], v10, s[sgprSizeI]           // coord0 < size0
v_cmp_lt_u32 s[56:57], v11, s[sgprSizeJ]           // coord1 < size1
s_and_b64 s[56:57], s[54:55], s[56:57]             // in0 && in1
v_mul_lo_u32 v9, v9, s[sgprStrideD1J]              // coord1 element offset =  coord1 * StrideD
_v_add_lshl_u32 v9, v9, v10, 0x0                   // scale to BPE
v_cndmask_b32 v9, -1, v9, s[56:57]                 // clip if OOB. offset
buffer_store_byte_d16_hi v21, v9, s[sgprSrdD:sgprSrdD+3], 0, offen, offset:0 // store D
_v_add_u32 v11, v5, 0                              // coord1 += nColPerLoad
_v_add_u32 v10, v4, 7                              // coord0 += element index of load vector
_v_add_u32 v9, v6, 0                               // offset coord1 += nColPerLoad
v_cmp_lt_u32 s[54:55], v10, s[sgprSizeI]           // coord0 < size0
v_cmp_lt_u32 s[56:57], v11, s[sgprSizeJ]           // coord1 < size1
s_and_b64 s[56:57], s[54:55], s[56:57]             // in0 && in1
v_mul_lo_u32 v9, v9, s[sgprStrideD1J]              // coord1 element offset =  coord1 * StrideD
_v_add_lshl_u32 v9, v9, v10, 0x0                   // scale to BPE
v_cndmask_b32 v9, -1, v9, s[56:57]                 // clip if OOB. offset
v_lshrrev_b32 v17, 8, v21                          // vGWTmp = src >> 8
buffer_store_byte_d16_hi v17, v9, s[sgprSrdD:sgprSrdD+3], 0, offen, offset:0 // store D
_v_add_u32 v11, v5, 0                              // coord1 += nColPerLoad
_v_add_u32 v10, v4, 8                              // coord0 += element index of load vector
_v_add_u32 v9, v6, 0                               // offset coord1 += nColPerLoad
v_cmp_lt_u32 s[54:55], v10, s[sgprSizeI]           // coord0 < size0
v_cmp_lt_u32 s[56:57], v11, s[sgprSizeJ]           // coord1 < size1
s_and_b64 s[56:57], s[54:55], s[56:57]             // in0 && in1
v_mul_lo_u32 v9, v9, s[sgprStrideD1J]              // coord1 element offset =  coord1 * StrideD
_v_add_lshl_u32 v9, v9, v10, 0x0                   // scale to BPE
v_cndmask_b32 v9, -1, v9, s[56:57]                 // clip if OOB. offset
buffer_store_byte v22, v9, s[sgprSrdD:sgprSrdD+3], 0, offen, offset:0 // store D
_v_add_u32 v11, v5, 0                              // coord1 += nColPerLoad
_v_add_u32 v10, v4, 9                              // coord0 += element index of load vector
_v_add_u32 v9, v6, 0                               // offset coord1 += nColPerLoad
v_cmp_lt_u32 s[54:55], v10, s[sgprSizeI]           // coord0 < size0
v_cmp_lt_u32 s[56:57], v11, s[sgprSizeJ]           // coord1 < size1
s_and_b64 s[56:57], s[54:55], s[56:57]             // in0 && in1
v_mul_lo_u32 v9, v9, s[sgprStrideD1J]              // coord1 element offset =  coord1 * StrideD
_v_add_lshl_u32 v9, v9, v10, 0x0                   // scale to BPE
v_cndmask_b32 v9, -1, v9, s[56:57]                 // clip if OOB. offset
v_lshrrev_b32 v17, 8, v22                          // vGWTmp = src >> 8
buffer_store_byte v17, v9, s[sgprSrdD:sgprSrdD+3], 0, offen, offset:0 // store D
_v_add_u32 v11, v5, 0                              // coord1 += nColPerLoad
_v_add_u32 v10, v4, 10                             // coord0 += element index of load vector
_v_add_u32 v9, v6, 0                               // offset coord1 += nColPerLoad
v_cmp_lt_u32 s[54:55], v10, s[sgprSizeI]           // coord0 < size0
v_cmp_lt_u32 s[56:57], v11, s[sgprSizeJ]           // coord1 < size1
s_and_b64 s[56:57], s[54:55], s[56:57]             // in0 && in1
v_mul_lo_u32 v9, v9, s[sgprStrideD1J]              // coord1 element offset =  coord1 * StrideD
_v_add_lshl_u32 v9, v9, v10, 0x0                   // scale to BPE
v_cndmask_b32 v9, -1, v9, s[56:57]                 // clip if OOB. offset
buffer_store_byte_d16_hi v22, v9, s[sgprSrdD:sgprSrdD+3], 0, offen, offset:0 // store D
_v_add_u32 v11, v5, 0                              // coord1 += nColPerLoad
_v_add_u32 v10, v4, 11                             // coord0 += element index of load vector
_v_add_u32 v9, v6, 0                               // offset coord1 += nColPerLoad
v_cmp_lt_u32 s[54:55], v10, s[sgprSizeI]           // coord0 < size0
v_cmp_lt_u32 s[56:57], v11, s[sgprSizeJ]           // coord1 < size1
s_and_b64 s[56:57], s[54:55], s[56:57]             // in0 && in1
v_mul_lo_u32 v9, v9, s[sgprStrideD1J]              // coord1 element offset =  coord1 * StrideD
_v_add_lshl_u32 v9, v9, v10, 0x0                   // scale to BPE
v_cndmask_b32 v9, -1, v9, s[56:57]                 // clip if OOB. offset
v_lshrrev_b32 v17, 8, v22                          // vGWTmp = src >> 8
buffer_store_byte_d16_hi v17, v9, s[sgprSrdD:sgprSrdD+3], 0, offen, offset:0 // store D
_v_add_u32 v11, v5, 0                              // coord1 += nColPerLoad
_v_add_u32 v10, v4, 12                             // coord0 += element index of load vector
_v_add_u32 v9, v6, 0                               // offset coord1 += nColPerLoad
v_cmp_lt_u32 s[54:55], v10, s[sgprSizeI]           // coord0 < size0
v_cmp_lt_u32 s[56:57], v11, s[sgprSizeJ]           // coord1 < size1
s_and_b64 s[56:57], s[54:55], s[56:57]             // in0 && in1
v_mul_lo_u32 v9, v9, s[sgprStrideD1J]              // coord1 element offset =  coord1 * StrideD
_v_add_lshl_u32 v9, v9, v10, 0x0                   // scale to BPE
v_cndmask_b32 v9, -1, v9, s[56:57]                 // clip if OOB. offset
buffer_store_byte v23, v9, s[sgprSrdD:sgprSrdD+3], 0, offen, offset:0 // store D
_v_add_u32 v11, v5, 0                              // coord1 += nColPerLoad
_v_add_u32 v10, v4, 13                             // coord0 += element index of load vector
_v_add_u32 v9, v6, 0                               // offset coord1 += nColPerLoad
v_cmp_lt_u32 s[54:55], v10, s[sgprSizeI]           // coord0 < size0
v_cmp_lt_u32 s[56:57], v11, s[sgprSizeJ]           // coord1 < size1
s_and_b64 s[56:57], s[54:55], s[56:57]             // in0 && in1
v_mul_lo_u32 v9, v9, s[sgprStrideD1J]              // coord1 element offset =  coord1 * StrideD
_v_add_lshl_u32 v9, v9, v10, 0x0                   // scale to BPE
v_cndmask_b32 v9, -1, v9, s[56:57]                 // clip if OOB. offset
v_lshrrev_b32 v17, 8, v23                          // vGWTmp = src >> 8
buffer_store_byte v17, v9, s[sgprSrdD:sgprSrdD+3], 0, offen, offset:0 // store D
_v_add_u32 v11, v5, 0                              // coord1 += nColPerLoad
_v_add_u32 v10, v4, 14                             // coord0 += element index of load vector
_v_add_u32 v9, v6, 0                               // offset coord1 += nColPerLoad
v_cmp_lt_u32 s[54:55], v10, s[sgprSizeI]           // coord0 < size0
v_cmp_lt_u32 s[56:57], v11, s[sgprSizeJ]           // coord1 < size1
s_and_b64 s[56:57], s[54:55], s[56:57]             // in0 && in1
v_mul_lo_u32 v9, v9, s[sgprStrideD1J]              // coord1 element offset =  coord1 * StrideD
_v_add_lshl_u32 v9, v9, v10, 0x0                   // scale to BPE
v_cndmask_b32 v9, -1, v9, s[56:57]                 // clip if OOB. offset
buffer_store_byte_d16_hi v23, v9, s[sgprSrdD:sgprSrdD+3], 0, offen, offset:0 // store D
_v_add_u32 v11, v5, 0                              // coord1 += nColPerLoad
_v_add_u32 v10, v4, 15                             // coord0 += element index of load vector
_v_add_u32 v9, v6, 0                               // offset coord1 += nColPerLoad
v_cmp_lt_u32 s[54:55], v10, s[sgprSizeI]           // coord0 < size0
v_cmp_lt_u32 s[56:57], v11, s[sgprSizeJ]           // coord1 < size1
s_and_b64 s[56:57], s[54:55], s[56:57]             // in0 && in1
v_mul_lo_u32 v9, v9, s[sgprStrideD1J]              // coord1 element offset =  coord1 * StrideD
_v_add_lshl_u32 v9, v9, v10, 0x0                   // scale to BPE
v_cndmask_b32 v9, -1, v9, s[56:57]                 // clip if OOB. offset
v_lshrrev_b32 v17, 8, v23                          // vGWTmp = src >> 8
buffer_store_byte_d16_hi v17, v9, s[sgprSrdD:sgprSrdD+3], 0, offen, offset:0 // store D
s_waitcnt lgkmcnt(0)                               // wait for LDS read
_v_add_u32 v11, v5, 4                              // coord1 += nColPerLoad
_v_add_u32 v10, v4, 0                              // coord0 += element index of load vector
_v_add_u32 v9, v6, 4                               // offset coord1 += nColPerLoad
v_cmp_lt_u32 s[54:55], v10, s[sgprSizeI]           // coord0 < size0
v_cmp_lt_u32 s[56:57], v11, s[sgprSizeJ]           // coord1 < size1
s_and_b64 s[56:57], s[54:55], s[56:57]             // in0 && in1
v_mul_lo_u32 v9, v9, s[sgprStrideD1J]              // coord1 element offset =  coord1 * StrideD
_v_add_lshl_u32 v9, v9, v10, 0x0                   // scale to BPE
v_cndmask_b32 v9, -1, v9, s[56:57]                 // clip if OOB. offset
buffer_store_byte v24, v9, s[sgprSrdD:sgprSrdD+3], 0, offen, offset:0 // store D
_v_add_u32 v11, v5, 4                              // coord1 += nColPerLoad
_v_add_u32 v10, v4, 1                              // coord0 += element index of load vector
_v_add_u32 v9, v6, 4                               // offset coord1 += nColPerLoad
v_cmp_lt_u32 s[54:55], v10, s[sgprSizeI]           // coord0 < size0
v_cmp_lt_u32 s[56:57], v11, s[sgprSizeJ]           // coord1 < size1
s_and_b64 s[56:57], s[54:55], s[56:57]             // in0 && in1
v_mul_lo_u32 v9, v9, s[sgprStrideD1J]              // coord1 element offset =  coord1 * StrideD
_v_add_lshl_u32 v9, v9, v10, 0x0                   // scale to BPE
v_cndmask_b32 v9, -1, v9, s[56:57]                 // clip if OOB. offset
v_lshrrev_b32 v17, 8, v24                          // vGWTmp = src >> 8
buffer_store_byte v17, v9, s[sgprSrdD:sgprSrdD+3], 0, offen, offset:0 // store D
_v_add_u32 v11, v5, 4                              // coord1 += nColPerLoad
_v_add_u32 v10, v4, 2                              // coord0 += element index of load vector
_v_add_u32 v9, v6, 4                               // offset coord1 += nColPerLoad
v_cmp_lt_u32 s[54:55], v10, s[sgprSizeI]           // coord0 < size0
v_cmp_lt_u32 s[56:57], v11, s[sgprSizeJ]           // coord1 < size1
s_and_b64 s[56:57], s[54:55], s[56:57]             // in0 && in1
v_mul_lo_u32 v9, v9, s[sgprStrideD1J]              // coord1 element offset =  coord1 * StrideD
_v_add_lshl_u32 v9, v9, v10, 0x0                   // scale to BPE
v_cndmask_b32 v9, -1, v9, s[56:57]                 // clip if OOB. offset
buffer_store_byte_d16_hi v24, v9, s[sgprSrdD:sgprSrdD+3], 0, offen, offset:0 // store D
_v_add_u32 v11, v5, 4                              // coord1 += nColPerLoad
_v_add_u32 v10, v4, 3                              // coord0 += element index of load vector
_v_add_u32 v9, v6, 4                               // offset coord1 += nColPerLoad
v_cmp_lt_u32 s[54:55], v10, s[sgprSizeI]           // coord0 < size0
v_cmp_lt_u32 s[56:57], v11, s[sgprSizeJ]           // coord1 < size1
s_and_b64 s[56:57], s[54:55], s[56:57]             // in0 && in1
v_mul_lo_u32 v9, v9, s[sgprStrideD1J]              // coord1 element offset =  coord1 * StrideD
_v_add_lshl_u32 v9, v9, v10, 0x0                   // scale to BPE
v_cndmask_b32 v9, -1, v9, s[56:57]                 // clip if OOB. offset
v_lshrrev_b32 v17, 8, v24                          // vGWTmp = src >> 8
buffer_store_byte_d16_hi v17, v9, s[sgprSrdD:sgprSrdD+3], 0, offen, offset:0 // store D
_v_add_u32 v11, v5, 4                              // coord1 += nColPerLoad
_v_add_u32 v10, v4, 4                              // coord0 += element index of load vector
_v_add_u32 v9, v6, 4                               // offset coord1 += nColPerLoad
v_cmp_lt_u32 s[54:55], v10, s[sgprSizeI]           // coord0 < size0
v_cmp_lt_u32 s[56:57], v11, s[sgprSizeJ]           // coord1 < size1
s_and_b64 s[56:57], s[54:55], s[56:57]             // in0 && in1
v_mul_lo_u32 v9, v9, s[sgprStrideD1J]              // coord1 element offset =  coord1 * StrideD
_v_add_lshl_u32 v9, v9, v10, 0x0                   // scale to BPE
v_cndmask_b32 v9, -1, v9, s[56:57]                 // clip if OOB. offset
buffer_store_byte v25, v9, s[sgprSrdD:sgprSrdD+3], 0, offen, offset:0 // store D
_v_add_u32 v11, v5, 4                              // coord1 += nColPerLoad
_v_add_u32 v10, v4, 5                              // coord0 += element index of load vector
_v_add_u32 v9, v6, 4                               // offset coord1 += nColPerLoad
v_cmp_lt_u32 s[54:55], v10, s[sgprSizeI]           // coord0 < size0
v_cmp_lt_u32 s[56:57], v11, s[sgprSizeJ]           // coord1 < size1
s_and_b64 s[56:57], s[54:55], s[56:57]             // in0 && in1
v_mul_lo_u32 v9, v9, s[sgprStrideD1J]              // coord1 element offset =  coord1 * StrideD
_v_add_lshl_u32 v9, v9, v10, 0x0                   // scale to BPE
v_cndmask_b32 v9, -1, v9, s[56:57]                 // clip if OOB. offset
v_lshrrev_b32 v17, 8, v25                          // vGWTmp = src >> 8
buffer_store_byte v17, v9, s[sgprSrdD:sgprSrdD+3], 0, offen, offset:0 // store D
_v_add_u32 v11, v5, 4                              // coord1 += nColPerLoad
_v_add_u32 v10, v4, 6                              // coord0 += element index of load vector
_v_add_u32 v9, v6, 4                               // offset coord1 += nColPerLoad
v_cmp_lt_u32 s[54:55], v10, s[sgprSizeI]           // coord0 < size0
v_cmp_lt_u32 s[56:57], v11, s[sgprSizeJ]           // coord1 < size1
s_and_b64 s[56:57], s[54:55], s[56:57]             // in0 && in1
v_mul_lo_u32 v9, v9, s[sgprStrideD1J]              // coord1 element offset =  coord1 * StrideD
_v_add_lshl_u32 v9, v9, v10, 0x0                   // scale to BPE
v_cndmask_b32 v9, -1, v9, s[56:57]                 // clip if OOB. offset
buffer_store_byte_d16_hi v25, v9, s[sgprSrdD:sgprSrdD+3], 0, offen, offset:0 // store D
_v_add_u32 v11, v5, 4                              // coord1 += nColPerLoad
_v_add_u32 v10, v4, 7                              // coord0 += element index of load vector
_v_add_u32 v9, v6, 4                               // offset coord1 += nColPerLoad
v_cmp_lt_u32 s[54:55], v10, s[sgprSizeI]           // coord0 < size0
v_cmp_lt_u32 s[56:57], v11, s[sgprSizeJ]           // coord1 < size1
s_and_b64 s[56:57], s[54:55], s[56:57]             // in0 && in1
v_mul_lo_u32 v9, v9, s[sgprStrideD1J]              // coord1 element offset =  coord1 * StrideD
_v_add_lshl_u32 v9, v9, v10, 0x0                   // scale to BPE
v_cndmask_b32 v9, -1, v9, s[56:57]                 // clip if OOB. offset
v_lshrrev_b32 v17, 8, v25                          // vGWTmp = src >> 8
buffer_store_byte_d16_hi v17, v9, s[sgprSrdD:sgprSrdD+3], 0, offen, offset:0 // store D
_v_add_u32 v11, v5, 4                              // coord1 += nColPerLoad
_v_add_u32 v10, v4, 8                              // coord0 += element index of load vector
_v_add_u32 v9, v6, 4                               // offset coord1 += nColPerLoad
v_cmp_lt_u32 s[54:55], v10, s[sgprSizeI]           // coord0 < size0
v_cmp_lt_u32 s[56:57], v11, s[sgprSizeJ]           // coord1 < size1
s_and_b64 s[56:57], s[54:55], s[56:57]             // in0 && in1
v_mul_lo_u32 v9, v9, s[sgprStrideD1J]              // coord1 element offset =  coord1 * StrideD
_v_add_lshl_u32 v9, v9, v10, 0x0                   // scale to BPE
v_cndmask_b32 v9, -1, v9, s[56:57]                 // clip if OOB. offset
buffer_store_byte v26, v9, s[sgprSrdD:sgprSrdD+3], 0, offen, offset:0 // store D
_v_add_u32 v11, v5, 4                              // coord1 += nColPerLoad
_v_add_u32 v10, v4, 9                              // coord0 += element index of load vector
_v_add_u32 v9, v6, 4                               // offset coord1 += nColPerLoad
v_cmp_lt_u32 s[54:55], v10, s[sgprSizeI]           // coord0 < size0
v_cmp_lt_u32 s[56:57], v11, s[sgprSizeJ]           // coord1 < size1
s_and_b64 s[56:57], s[54:55], s[56:57]             // in0 && in1
v_mul_lo_u32 v9, v9, s[sgprStrideD1J]              // coord1 element offset =  coord1 * StrideD
_v_add_lshl_u32 v9, v9, v10, 0x0                   // scale to BPE
v_cndmask_b32 v9, -1, v9, s[56:57]                 // clip if OOB. offset
v_lshrrev_b32 v17, 8, v26                          // vGWTmp = src >> 8
buffer_store_byte v17, v9, s[sgprSrdD:sgprSrdD+3], 0, offen, offset:0 // store D
_v_add_u32 v11, v5, 4                              // coord1 += nColPerLoad
_v_add_u32 v10, v4, 10                             // coord0 += element index of load vector
_v_add_u32 v9, v6, 4                               // offset coord1 += nColPerLoad
v_cmp_lt_u32 s[54:55], v10, s[sgprSizeI]           // coord0 < size0
v_cmp_lt_u32 s[56:57], v11, s[sgprSizeJ]           // coord1 < size1
s_and_b64 s[56:57], s[54:55], s[56:57]             // in0 && in1
v_mul_lo_u32 v9, v9, s[sgprStrideD1J]              // coord1 element offset =  coord1 * StrideD
_v_add_lshl_u32 v9, v9, v10, 0x0                   // scale to BPE
v_cndmask_b32 v9, -1, v9, s[56:57]                 // clip if OOB. offset
buffer_store_byte_d16_hi v26, v9, s[sgprSrdD:sgprSrdD+3], 0, offen, offset:0 // store D
_v_add_u32 v11, v5, 4                              // coord1 += nColPerLoad
_v_add_u32 v10, v4, 11                             // coord0 += element index of load vector
_v_add_u32 v9, v6, 4                               // offset coord1 += nColPerLoad
v_cmp_lt_u32 s[54:55], v10, s[sgprSizeI]           // coord0 < size0
v_cmp_lt_u32 s[56:57], v11, s[sgprSizeJ]           // coord1 < size1
s_and_b64 s[56:57], s[54:55], s[56:57]             // in0 && in1
v_mul_lo_u32 v9, v9, s[sgprStrideD1J]              // coord1 element offset =  coord1 * StrideD
_v_add_lshl_u32 v9, v9, v10, 0x0                   // scale to BPE
v_cndmask_b32 v9, -1, v9, s[56:57]                 // clip if OOB. offset
v_lshrrev_b32 v17, 8, v26                          // vGWTmp = src >> 8
buffer_store_byte_d16_hi v17, v9, s[sgprSrdD:sgprSrdD+3], 0, offen, offset:0 // store D
_v_add_u32 v11, v5, 4                              // coord1 += nColPerLoad
_v_add_u32 v10, v4, 12                             // coord0 += element index of load vector
_v_add_u32 v9, v6, 4                               // offset coord1 += nColPerLoad
v_cmp_lt_u32 s[54:55], v10, s[sgprSizeI]           // coord0 < size0
v_cmp_lt_u32 s[56:57], v11, s[sgprSizeJ]           // coord1 < size1
s_and_b64 s[56:57], s[54:55], s[56:57]             // in0 && in1
v_mul_lo_u32 v9, v9, s[sgprStrideD1J]              // coord1 element offset =  coord1 * StrideD
_v_add_lshl_u32 v9, v9, v10, 0x0                   // scale to BPE
v_cndmask_b32 v9, -1, v9, s[56:57]                 // clip if OOB. offset
buffer_store_byte v27, v9, s[sgprSrdD:sgprSrdD+3], 0, offen, offset:0 // store D
_v_add_u32 v11, v5, 4                              // coord1 += nColPerLoad
_v_add_u32 v10, v4, 13                             // coord0 += element index of load vector
_v_add_u32 v9, v6, 4                               // offset coord1 += nColPerLoad
v_cmp_lt_u32 s[54:55], v10, s[sgprSizeI]           // coord0 < size0
v_cmp_lt_u32 s[56:57], v11, s[sgprSizeJ]           // coord1 < size1
s_and_b64 s[56:57], s[54:55], s[56:57]             // in0 && in1
v_mul_lo_u32 v9, v9, s[sgprStrideD1J]              // coord1 element offset =  coord1 * StrideD
_v_add_lshl_u32 v9, v9, v10, 0x0                   // scale to BPE
v_cndmask_b32 v9, -1, v9, s[56:57]                 // clip if OOB. offset
v_lshrrev_b32 v17, 8, v27                          // vGWTmp = src >> 8
buffer_store_byte v17, v9, s[sgprSrdD:sgprSrdD+3], 0, offen, offset:0 // store D
_v_add_u32 v11, v5, 4                              // coord1 += nColPerLoad
_v_add_u32 v10, v4, 14                             // coord0 += element index of load vector
_v_add_u32 v9, v6, 4                               // offset coord1 += nColPerLoad
v_cmp_lt_u32 s[54:55], v10, s[sgprSizeI]           // coord0 < size0
v_cmp_lt_u32 s[56:57], v11, s[sgprSizeJ]           // coord1 < size1
s_and_b64 s[56:57], s[54:55], s[56:57]             // in0 && in1
v_mul_lo_u32 v9, v9, s[sgprStrideD1J]              // coord1 element offset =  coord1 * StrideD
_v_add_lshl_u32 v9, v9, v10, 0x0                   // scale to BPE
v_cndmask_b32 v9, -1, v9, s[56:57]                 // clip if OOB. offset
buffer_store_byte_d16_hi v27, v9, s[sgprSrdD:sgprSrdD+3], 0, offen, offset:0 // store D
_v_add_u32 v11, v5, 4                              // coord1 += nColPerLoad
_v_add_u32 v10, v4, 15                             // coord0 += element index of load vector
_v_add_u32 v9, v6, 4                               // offset coord1 += nColPerLoad
v_cmp_lt_u32 s[54:55], v10, s[sgprSizeI]           // coord0 < size0
v_cmp_lt_u32 s[56:57], v11, s[sgprSizeJ]           // coord1 < size1
s_and_b64 s[56:57], s[54:55], s[56:57]             // in0 && in1
v_mul_lo_u32 v9, v9, s[sgprStrideD1J]              // coord1 element offset =  coord1 * StrideD
_v_add_lshl_u32 v9, v9, v10, 0x0                   // scale to BPE
v_cndmask_b32 v9, -1, v9, s[56:57]                 // clip if OOB. offset
v_lshrrev_b32 v17, 8, v27                          // vGWTmp = src >> 8
buffer_store_byte_d16_hi v17, v9, s[sgprSrdD:sgprSrdD+3], 0, offen, offset:0 // store D

s_barrier //wait all lds read finished
s_nop 0                                            // 1 wait state required when next inst writes vgprs held by previous dwordx4 store inst
/* optSingleColVgpr=0 optSharedColVgpr=0 optSGPRUsage=BufferLoad_Edge_Mask optSrdIncForRow=1 */

/******************************************/
/* Global Write Alpha Beta Edge Batch #28 (d1,d0,vc1,vc0) = */
/*    (7,0,0,0:vw1); (7,0,0,1:vw1); (7,0,0,2:vw1); (7,0,0,3:vw1); (7,1,0,0:vw1); (7,1,0,1:vw1); (7,1,0,2:vw1); (7,1,0,3:vw1) */
/******************************************/

/* calc coords, apply mask, and issue loads (if necessary) */
/* (d1,vc1,d0,vc0)=(7,0,0,0) */
_v_add_co_u32 v1, vcc, v1, 32                      // coord1.1: coord1Vgpr += d1*sg1*VW + vc1
v_cmp_lt_u32 s[54:55], v0, s[sgprSizeI]            // coord0 < size0
v_cmp_lt_u32 s[58:59], v1, s[sgprSizeJ]            // coord1 < size1
s_and_b64 s[58:59], s[54:55], s[58:59]             // in0 && in1
_v_add_lshl_u32 v9, v2, v0, 0x0                    // scaleToBpe: accumulate d0 lower and *= bpe into Cin addr
v_cndmask_b32 v9, -1, v9, s[58:59]                 // LDC clip if OOB. offset
s_mul_i32 s54, s[sgprStrideC1J], 32                // scale StrideC *= numRows(32) * bpe
s_add_u32  s[sgprSrdC+0], s[sgprSrdC+0], s54       // incToNextRow: gra SRD += inc(lower)
s_addc_u32  s[sgprSrdC+1], s[sgprSrdC+1], 0        // incToNextRow: gra SRD += inc(upper)
buffer_load_ubyte v17, v9, s[sgprSrdC:sgprSrdC+3], 0, offen offset:0 // load C for beta calc
_v_add_lshl_u32 v9, v3, v0, 0x0                    // scaleToBpe: accumulate d0 lower and *= bpe into Cin addr
v_cndmask_b32 v9, -1, v9, s[58:59]                 // LDD clip if OOB. offset
/* (d1,vc1,d0,vc0)=(7,0,0,1) */
_v_add_co_u32 v10, vcc, v0, 1                      // coord0.1: coord0 += d0*sg0*VW + vc0
v_cmp_lt_u32 s[54:55], v10, s[sgprSizeI]           // coord0 < size0
v_cmp_lt_u32 s[58:59], v1, s[sgprSizeJ]            // coord1 < size1
s_and_b64 s[58:59], s[54:55], s[58:59]             // in0 && in1
_v_add_lshl_u32 v19, v2, v10, 0x0                  // scaleToBpe: accumulate d0 lower and *= bpe into Cin addr
v_cndmask_b32 v19, -1, v19, s[58:59]               // LDC clip if OOB. offset
buffer_load_ubyte v20, v19, s[sgprSrdC:sgprSrdC+3], 0, offen offset:0 // load C for beta calc
_v_add_lshl_u32 v19, v3, v10, 0x0                  // scaleToBpe: accumulate d0 lower and *= bpe into Cin addr
v_cndmask_b32 v19, -1, v19, s[58:59]               // LDD clip if OOB. offset
/* (d1,vc1,d0,vc0)=(7,0,0,2) */
_v_add_co_u32 v10, vcc, v0, 2                      // coord0.1: coord0 += d0*sg0*VW + vc0
v_cmp_lt_u32 s[54:55], v10, s[sgprSizeI]           // coord0 < size0
v_cmp_lt_u32 s[58:59], v1, s[sgprSizeJ]            // coord1 < size1
s_and_b64 s[58:59], s[54:55], s[58:59]             // in0 && in1
_v_add_lshl_u32 v22, v2, v10, 0x0                  // scaleToBpe: accumulate d0 lower and *= bpe into Cin addr
v_cndmask_b32 v22, -1, v22, s[58:59]               // LDC clip if OOB. offset
buffer_load_ubyte v23, v22, s[sgprSrdC:sgprSrdC+3], 0, offen offset:0 // load C for beta calc
_v_add_lshl_u32 v22, v3, v10, 0x0                  // scaleToBpe: accumulate d0 lower and *= bpe into Cin addr
v_cndmask_b32 v22, -1, v22, s[58:59]               // LDD clip if OOB. offset
	;; [unrolled: 10-line block ×5, first 2 shown]
/* (d1,vc1,d0,vc0)=(7,0,1,2) */
_v_add_co_u32 v10, vcc, v0, 10                     // coord0.1: coord0 += d0*sg0*VW + vc0
v_cmp_lt_u32 s[54:55], v10, s[sgprSizeI]           // coord0 < size0
v_cmp_lt_u32 s[58:59], v1, s[sgprSizeJ]            // coord1 < size1
s_and_b64 s[58:59], s[54:55], s[58:59]             // in0 && in1
_v_add_lshl_u32 v34, v2, v10, 0x0                  // scaleToBpe: accumulate d0 lower and *= bpe into Cin addr
v_cndmask_b32 v34, -1, v34, s[58:59]               // LDC clip if OOB. offset
buffer_load_ubyte v35, v34, s[sgprSrdC:sgprSrdC+3], 0, offen offset:0 // load C for beta calc
_v_add_lshl_u32 v34, v3, v10, 0x0                  // scaleToBpe: accumulate d0 lower and *= bpe into Cin addr
v_cndmask_b32 v34, -1, v34, s[58:59]               // LDD clip if OOB. offset
/* (d1,vc1,d0,vc0)=(7,0,1,3) */
_v_add_co_u32 v10, vcc, v0, 11                     // coord0.1: coord0 += d0*sg0*VW + vc0
v_cmp_lt_u32 s[54:55], v10, s[sgprSizeI]           // coord0 < size0
v_cmp_lt_u32 s[58:59], v1, s[sgprSizeJ]            // coord1 < size1
s_and_b64 s[58:59], s[54:55], s[58:59]             // in0 && in1
_v_add_lshl_u32 v37, v2, v10, 0x0                  // scaleToBpe: accumulate d0 lower and *= bpe into Cin addr
v_cndmask_b32 v37, -1, v37, s[58:59]               // LDC clip if OOB. offset
buffer_load_ubyte v38, v37, s[sgprSrdC:sgprSrdC+3], 0, offen offset:0 // load C for beta calc
_v_add_lshl_u32 v37, v3, v10, 0x0                  // scaleToBpe: accumulate d0 lower and *= bpe into Cin addr
v_cndmask_b32 v37, -1, v37, s[58:59]               // LDD clip if OOB. offset
v_accvgpr_read_b32 v[vgprValuC+18], acc224 // copy acc to vreg[224]
v_accvgpr_read_b32 v[vgprValuC+21], acc225 // copy acc to vreg[225]
v_accvgpr_read_b32 v[vgprValuC+24], acc226 // copy acc to vreg[226]
v_accvgpr_read_b32 v[vgprValuC+27], acc227 // copy acc to vreg[227]
v_accvgpr_read_b32 v[vgprValuC+30], acc228 // copy acc to vreg[228]
v_accvgpr_read_b32 v[vgprValuC+33], acc229 // copy acc to vreg[229]
v_accvgpr_read_b32 v[vgprValuC+36], acc230 // copy acc to vreg[230]
v_accvgpr_read_b32 v[vgprValuC+39], acc231 // copy acc to vreg[231]
s_nop 1                                            // 2 wait states required before reading vgpr

/* rC *= alpha batchElements=[(7, 0, 0, 0), (7, 0, 0, 1), (7, 0, 0, 2), (7, 0, 0, 3), (7, 1, 0, 0), (7, 1, 0, 1), (7, 1, 0, 2), (7, 1, 0, 3)] */
v_mul_f32 v[vgprValuC+18], s[sgprAlpha], v[vgprValuC+18] // *= alpha
v_mul_f32 v[vgprValuC+21], s[sgprAlpha], v[vgprValuC+21] // *= alpha
	;; [unrolled: 1-line block ×8, first 2 shown]
s_waitcnt vmcnt(0)                                 // wait C

/* apply mask, calc new C and issue writes */
v_mov_b32 v16, 0x207                               // flag for Nan and +/- inf
v_mov_b32 v14, 0x43700000                          // save 240.0f as max for clipping
v_mov_b32 v15, 0xC3700000                          // save -240.0f as min for clipping

/* StoreRemap: shift coord1 address */
s_mul_i32 s54, s[sgprStrideD1J], 32                // scale StrideD *= numRows(32) * bpe
s_add_u32  s[sgprSrdD+0], s[sgprSrdD+0], s54       // incToNextRow: gra SRD += inc(lower)
s_addc_u32  s[sgprSrdD+1], s[sgprSrdD+1], 0        // incToNextRow: gra SRD += inc(upper)
v_mov_b32 v10, 32                                  // set shift rows
_v_add_u32 v5, v5, v10                             // shift storeRemap coord1
v_cvt_f32_fp8 v12, v17 src0_sel:BYTE_0   // convert fp8 in lo_byte[0] to f32
_v_mac_f32 v[vgprValuC+18], v12, s[sgprBeta]       // finalSum = sum*alpha + C*beta
v_cmp_class_f32 s[54:55], v[vgprValuC+18], v16     // check NaN and +/-INF
v_med3_f32 v12, v[vgprValuC+18], v14, v15          // Clipping f32 value if exceeds the limit
v_cndmask_b32 v12, v12, v[vgprValuC+18], s[54:55]  // 
v_cvt_pk_fp8_f32  v18, v12, v12                    // convert f32 accumulated values to fp8
ds_write_b8 v7, v18, offset:0                      // storeRemap lw
v_cvt_f32_fp8 v12, v20 src0_sel:BYTE_0   // convert fp8 in lo_byte[0] to f32
_v_mac_f32 v[vgprValuC+21], v12, s[sgprBeta]       // finalSum = sum*alpha + C*beta
v_cmp_class_f32 s[54:55], v[vgprValuC+21], v16     // check NaN and +/-INF
v_med3_f32 v12, v[vgprValuC+21], v14, v15          // Clipping f32 value if exceeds the limit
v_cndmask_b32 v12, v12, v[vgprValuC+21], s[54:55]  // 
v_cvt_pk_fp8_f32  v21, v12, v12                    // convert f32 accumulated values to fp8
ds_write_b8 v7, v21, offset:1                      // storeRemap lw
	;; [unrolled: 7-line block ×6, first 2 shown]
v_cvt_f32_fp8 v12, v35 src0_sel:BYTE_0   // convert fp8 in lo_byte[0] to f32
_v_mac_f32 v[vgprValuC+36], v12, s[sgprBeta]       // finalSum = sum*alpha + C*beta
v_cmp_class_f32 s[54:55], v[vgprValuC+36], v16     // check NaN and +/-INF
v_med3_f32 v12, v[vgprValuC+36], v14, v15          // Clipping f32 value if exceeds the limit
v_cndmask_b32 v12, v12, v[vgprValuC+36], s[54:55]  // 
v_cvt_pk_fp8_f32  v36, v12, v12                    // convert f32 accumulated values to fp8
ds_write_b8 v7, v36, offset:10                     // storeRemap lw
v_cvt_f32_fp8 v12, v38 src0_sel:BYTE_0   // convert fp8 in lo_byte[0] to f32
_v_mac_f32 v[vgprValuC+39], v12, s[sgprBeta]       // finalSum = sum*alpha + C*beta
v_cmp_class_f32 s[54:55], v[vgprValuC+39], v16     // check NaN and +/-INF
v_med3_f32 v12, v[vgprValuC+39], v14, v15          // Clipping f32 value if exceeds the limit
v_cndmask_b32 v12, v12, v[vgprValuC+39], s[54:55]  // 
v_cvt_pk_fp8_f32  v39, v12, v12                    // convert f32 accumulated values to fp8
ds_write_b8 v7, v39, offset:11                     // storeRemap lw
s_nop 0                                            // 1 wait state required when next inst writes vgprs held by previous dwordx4 store inst
/* optSingleColVgpr=0 optSharedColVgpr=0 optSGPRUsage=BufferLoad_Edge_Mask optSrdIncForRow=1 */

/******************************************/
/* Global Write Alpha Beta Edge Batch #29 (d1,d0,vc1,vc0) = */
/*    (7,2,0,0:vw1); (7,2,0,1:vw1); (7,2,0,2:vw1); (7,2,0,3:vw1); (7,3,0,0:vw1); (7,3,0,1:vw1); (7,3,0,2:vw1); (7,3,0,3:vw1) */
/******************************************/

/* calc coords, apply mask, and issue loads (if necessary) */
/* (d1,vc1,d0,vc0)=(7,0,2,0) */
_v_add_co_u32 v10, vcc, v0, 16                     // coord0.1: coord0 += d0*sg0*VW + vc0
v_cmp_lt_u32 s[54:55], v10, s[sgprSizeI]           // coord0 < size0
v_cmp_lt_u32 s[58:59], v1, s[sgprSizeJ]            // coord1 < size1
s_and_b64 s[58:59], s[54:55], s[58:59]             // in0 && in1
_v_add_lshl_u32 v9, v2, v10, 0x0                   // scaleToBpe: accumulate d0 lower and *= bpe into Cin addr
v_cndmask_b32 v9, -1, v9, s[58:59]                 // LDC clip if OOB. offset
buffer_load_ubyte v17, v9, s[sgprSrdC:sgprSrdC+3], 0, offen offset:0 // load C for beta calc
_v_add_lshl_u32 v9, v3, v10, 0x0                   // scaleToBpe: accumulate d0 lower and *= bpe into Cin addr
v_cndmask_b32 v9, -1, v9, s[58:59]                 // LDD clip if OOB. offset
/* (d1,vc1,d0,vc0)=(7,0,2,1) */
_v_add_co_u32 v10, vcc, v0, 17                     // coord0.1: coord0 += d0*sg0*VW + vc0
v_cmp_lt_u32 s[54:55], v10, s[sgprSizeI]           // coord0 < size0
v_cmp_lt_u32 s[58:59], v1, s[sgprSizeJ]            // coord1 < size1
s_and_b64 s[58:59], s[54:55], s[58:59]             // in0 && in1
_v_add_lshl_u32 v19, v2, v10, 0x0                  // scaleToBpe: accumulate d0 lower and *= bpe into Cin addr
v_cndmask_b32 v19, -1, v19, s[58:59]               // LDC clip if OOB. offset
buffer_load_ubyte v20, v19, s[sgprSrdC:sgprSrdC+3], 0, offen offset:0 // load C for beta calc
_v_add_lshl_u32 v19, v3, v10, 0x0                  // scaleToBpe: accumulate d0 lower and *= bpe into Cin addr
v_cndmask_b32 v19, -1, v19, s[58:59]               // LDD clip if OOB. offset
/* (d1,vc1,d0,vc0)=(7,0,2,2) */
_v_add_co_u32 v10, vcc, v0, 18                     // coord0.1: coord0 += d0*sg0*VW + vc0
v_cmp_lt_u32 s[54:55], v10, s[sgprSizeI]           // coord0 < size0
v_cmp_lt_u32 s[58:59], v1, s[sgprSizeJ]            // coord1 < size1
s_and_b64 s[58:59], s[54:55], s[58:59]             // in0 && in1
_v_add_lshl_u32 v22, v2, v10, 0x0                  // scaleToBpe: accumulate d0 lower and *= bpe into Cin addr
v_cndmask_b32 v22, -1, v22, s[58:59]               // LDC clip if OOB. offset
buffer_load_ubyte v23, v22, s[sgprSrdC:sgprSrdC+3], 0, offen offset:0 // load C for beta calc
_v_add_lshl_u32 v22, v3, v10, 0x0                  // scaleToBpe: accumulate d0 lower and *= bpe into Cin addr
v_cndmask_b32 v22, -1, v22, s[58:59]               // LDD clip if OOB. offset
	;; [unrolled: 10-line block ×7, first 2 shown]
v_accvgpr_read_b32 v[vgprValuC+18], acc232 // copy acc to vreg[232]
v_accvgpr_read_b32 v[vgprValuC+21], acc233 // copy acc to vreg[233]
v_accvgpr_read_b32 v[vgprValuC+24], acc234 // copy acc to vreg[234]
v_accvgpr_read_b32 v[vgprValuC+27], acc235 // copy acc to vreg[235]
v_accvgpr_read_b32 v[vgprValuC+30], acc236 // copy acc to vreg[236]
v_accvgpr_read_b32 v[vgprValuC+33], acc237 // copy acc to vreg[237]
v_accvgpr_read_b32 v[vgprValuC+36], acc238 // copy acc to vreg[238]
v_accvgpr_read_b32 v[vgprValuC+39], acc239 // copy acc to vreg[239]
s_nop 1                                            // 2 wait states required before reading vgpr

/* rC *= alpha batchElements=[(7, 2, 0, 0), (7, 2, 0, 1), (7, 2, 0, 2), (7, 2, 0, 3), (7, 3, 0, 0), (7, 3, 0, 1), (7, 3, 0, 2), (7, 3, 0, 3)] */
v_mul_f32 v[vgprValuC+18], s[sgprAlpha], v[vgprValuC+18] // *= alpha
v_mul_f32 v[vgprValuC+21], s[sgprAlpha], v[vgprValuC+21] // *= alpha
v_mul_f32 v[vgprValuC+24], s[sgprAlpha], v[vgprValuC+24] // *= alpha
v_mul_f32 v[vgprValuC+27], s[sgprAlpha], v[vgprValuC+27] // *= alpha
v_mul_f32 v[vgprValuC+30], s[sgprAlpha], v[vgprValuC+30] // *= alpha
v_mul_f32 v[vgprValuC+33], s[sgprAlpha], v[vgprValuC+33] // *= alpha
v_mul_f32 v[vgprValuC+36], s[sgprAlpha], v[vgprValuC+36] // *= alpha
v_mul_f32 v[vgprValuC+39], s[sgprAlpha], v[vgprValuC+39] // *= alpha
s_waitcnt vmcnt(0)                                 // wait C

/* apply mask, calc new C and issue writes */
v_mov_b32 v16, 0x207                               // flag for Nan and +/- inf
v_mov_b32 v14, 0x43700000                          // save 240.0f as max for clipping
v_mov_b32 v15, 0xC3700000                          // save -240.0f as min for clipping
v_cvt_f32_fp8 v12, v17 src0_sel:BYTE_0   // convert fp8 in lo_byte[0] to f32
_v_mac_f32 v[vgprValuC+18], v12, s[sgprBeta]       // finalSum = sum*alpha + C*beta
v_cmp_class_f32 s[54:55], v[vgprValuC+18], v16     // check NaN and +/-INF
v_med3_f32 v12, v[vgprValuC+18], v14, v15          // Clipping f32 value if exceeds the limit
v_cndmask_b32 v12, v12, v[vgprValuC+18], s[54:55]  // 
v_cvt_pk_fp8_f32  v18, v12, v12                    // convert f32 accumulated values to fp8
ds_write_b8 v7, v18, offset:16                     // storeRemap lw
v_cvt_f32_fp8 v12, v20 src0_sel:BYTE_0   // convert fp8 in lo_byte[0] to f32
_v_mac_f32 v[vgprValuC+21], v12, s[sgprBeta]       // finalSum = sum*alpha + C*beta
v_cmp_class_f32 s[54:55], v[vgprValuC+21], v16     // check NaN and +/-INF
v_med3_f32 v12, v[vgprValuC+21], v14, v15          // Clipping f32 value if exceeds the limit
v_cndmask_b32 v12, v12, v[vgprValuC+21], s[54:55]  // 
v_cvt_pk_fp8_f32  v21, v12, v12                    // convert f32 accumulated values to fp8
ds_write_b8 v7, v21, offset:17                     // storeRemap lw
	;; [unrolled: 7-line block ×8, first 2 shown]
s_nop 0                                            // 1 wait state required when next inst writes vgprs held by previous dwordx4 store inst
/* optSingleColVgpr=0 optSharedColVgpr=0 optSGPRUsage=BufferLoad_Edge_Mask optSrdIncForRow=1 */

/******************************************/
/* Global Write Alpha Beta Edge Batch #30 (d1,d0,vc1,vc0) = */
/*    (7,4,0,0:vw1); (7,4,0,1:vw1); (7,4,0,2:vw1); (7,4,0,3:vw1); (7,5,0,0:vw1); (7,5,0,1:vw1); (7,5,0,2:vw1); (7,5,0,3:vw1) */
/******************************************/

/* calc coords, apply mask, and issue loads (if necessary) */
/* (d1,vc1,d0,vc0)=(7,0,4,0) */
s_mov_b32 s54, 128                                 // coordOffset0 d0=4 vc0=0
_v_add_co_u32 v10, vcc, v0, s54                    // coord0.2: coord0 += d0*sg0*VW + vc0
v_cmp_lt_u32 s[54:55], v10, s[sgprSizeI]           // coord0 < size0
v_cmp_lt_u32 s[58:59], v1, s[sgprSizeJ]            // coord1 < size1
s_and_b64 s[58:59], s[54:55], s[58:59]             // in0 && in1
_v_add_lshl_u32 v9, v2, v10, 0x0                   // scaleToBpe: accumulate d0 lower and *= bpe into Cin addr
v_cndmask_b32 v9, -1, v9, s[58:59]                 // LDC clip if OOB. offset
buffer_load_ubyte v17, v9, s[sgprSrdC:sgprSrdC+3], 0, offen offset:0 // load C for beta calc
_v_add_lshl_u32 v9, v3, v10, 0x0                   // scaleToBpe: accumulate d0 lower and *= bpe into Cin addr
v_cndmask_b32 v9, -1, v9, s[58:59]                 // LDD clip if OOB. offset
/* (d1,vc1,d0,vc0)=(7,0,4,1) */
s_mov_b32 s54, 129                                 // coordOffset0 d0=4 vc0=1
_v_add_co_u32 v10, vcc, v0, s54                    // coord0.2: coord0 += d0*sg0*VW + vc0
v_cmp_lt_u32 s[54:55], v10, s[sgprSizeI]           // coord0 < size0
v_cmp_lt_u32 s[58:59], v1, s[sgprSizeJ]            // coord1 < size1
s_and_b64 s[58:59], s[54:55], s[58:59]             // in0 && in1
_v_add_lshl_u32 v19, v2, v10, 0x0                  // scaleToBpe: accumulate d0 lower and *= bpe into Cin addr
v_cndmask_b32 v19, -1, v19, s[58:59]               // LDC clip if OOB. offset
buffer_load_ubyte v20, v19, s[sgprSrdC:sgprSrdC+3], 0, offen offset:0 // load C for beta calc
_v_add_lshl_u32 v19, v3, v10, 0x0                  // scaleToBpe: accumulate d0 lower and *= bpe into Cin addr
v_cndmask_b32 v19, -1, v19, s[58:59]               // LDD clip if OOB. offset
/* (d1,vc1,d0,vc0)=(7,0,4,2) */
s_mov_b32 s54, 130                                 // coordOffset0 d0=4 vc0=2
_v_add_co_u32 v10, vcc, v0, s54                    // coord0.2: coord0 += d0*sg0*VW + vc0
v_cmp_lt_u32 s[54:55], v10, s[sgprSizeI]           // coord0 < size0
v_cmp_lt_u32 s[58:59], v1, s[sgprSizeJ]            // coord1 < size1
s_and_b64 s[58:59], s[54:55], s[58:59]             // in0 && in1
_v_add_lshl_u32 v22, v2, v10, 0x0                  // scaleToBpe: accumulate d0 lower and *= bpe into Cin addr
v_cndmask_b32 v22, -1, v22, s[58:59]               // LDC clip if OOB. offset
buffer_load_ubyte v23, v22, s[sgprSrdC:sgprSrdC+3], 0, offen offset:0 // load C for beta calc
_v_add_lshl_u32 v22, v3, v10, 0x0                  // scaleToBpe: accumulate d0 lower and *= bpe into Cin addr
v_cndmask_b32 v22, -1, v22, s[58:59]               // LDD clip if OOB. offset
	;; [unrolled: 11-line block ×7, first 2 shown]
v_accvgpr_read_b32 v[vgprValuC+18], acc240 // copy acc to vreg[240]
v_accvgpr_read_b32 v[vgprValuC+21], acc241 // copy acc to vreg[241]
v_accvgpr_read_b32 v[vgprValuC+24], acc242 // copy acc to vreg[242]
v_accvgpr_read_b32 v[vgprValuC+27], acc243 // copy acc to vreg[243]
v_accvgpr_read_b32 v[vgprValuC+30], acc244 // copy acc to vreg[244]
v_accvgpr_read_b32 v[vgprValuC+33], acc245 // copy acc to vreg[245]
v_accvgpr_read_b32 v[vgprValuC+36], acc246 // copy acc to vreg[246]
v_accvgpr_read_b32 v[vgprValuC+39], acc247 // copy acc to vreg[247]
s_nop 1                                            // 2 wait states required before reading vgpr

/* rC *= alpha batchElements=[(7, 4, 0, 0), (7, 4, 0, 1), (7, 4, 0, 2), (7, 4, 0, 3), (7, 5, 0, 0), (7, 5, 0, 1), (7, 5, 0, 2), (7, 5, 0, 3)] */
v_mul_f32 v[vgprValuC+18], s[sgprAlpha], v[vgprValuC+18] // *= alpha
v_mul_f32 v[vgprValuC+21], s[sgprAlpha], v[vgprValuC+21] // *= alpha
	;; [unrolled: 1-line block ×8, first 2 shown]
s_waitcnt vmcnt(0)                                 // wait C

/* apply mask, calc new C and issue writes */
v_mov_b32 v16, 0x207                               // flag for Nan and +/- inf
v_mov_b32 v14, 0x43700000                          // save 240.0f as max for clipping
v_mov_b32 v15, 0xC3700000                          // save -240.0f as min for clipping
v_cvt_f32_fp8 v12, v17 src0_sel:BYTE_0   // convert fp8 in lo_byte[0] to f32
_v_mac_f32 v[vgprValuC+18], v12, s[sgprBeta]       // finalSum = sum*alpha + C*beta
v_cmp_class_f32 s[54:55], v[vgprValuC+18], v16     // check NaN and +/-INF
v_med3_f32 v12, v[vgprValuC+18], v14, v15          // Clipping f32 value if exceeds the limit
v_cndmask_b32 v12, v12, v[vgprValuC+18], s[54:55]  // 
v_cvt_pk_fp8_f32  v18, v12, v12                    // convert f32 accumulated values to fp8
ds_write_b8 v7, v18, offset:128                    // storeRemap lw
v_cvt_f32_fp8 v12, v20 src0_sel:BYTE_0   // convert fp8 in lo_byte[0] to f32
_v_mac_f32 v[vgprValuC+21], v12, s[sgprBeta]       // finalSum = sum*alpha + C*beta
v_cmp_class_f32 s[54:55], v[vgprValuC+21], v16     // check NaN and +/-INF
v_med3_f32 v12, v[vgprValuC+21], v14, v15          // Clipping f32 value if exceeds the limit
v_cndmask_b32 v12, v12, v[vgprValuC+21], s[54:55]  // 
v_cvt_pk_fp8_f32  v21, v12, v12                    // convert f32 accumulated values to fp8
ds_write_b8 v7, v21, offset:129                    // storeRemap lw
v_cvt_f32_fp8 v12, v23 src0_sel:BYTE_0   // convert fp8 in lo_byte[0] to f32
_v_mac_f32 v[vgprValuC+24], v12, s[sgprBeta]       // finalSum = sum*alpha + C*beta
v_cmp_class_f32 s[54:55], v[vgprValuC+24], v16     // check NaN and +/-INF
v_med3_f32 v12, v[vgprValuC+24], v14, v15          // Clipping f32 value if exceeds the limit
v_cndmask_b32 v12, v12, v[vgprValuC+24], s[54:55]  // 
v_cvt_pk_fp8_f32  v24, v12, v12                    // convert f32 accumulated values to fp8
ds_write_b8 v7, v24, offset:130                    // storeRemap lw
v_cvt_f32_fp8 v12, v26 src0_sel:BYTE_0   // convert fp8 in lo_byte[0] to f32
_v_mac_f32 v[vgprValuC+27], v12, s[sgprBeta]       // finalSum = sum*alpha + C*beta
v_cmp_class_f32 s[54:55], v[vgprValuC+27], v16     // check NaN and +/-INF
v_med3_f32 v12, v[vgprValuC+27], v14, v15          // Clipping f32 value if exceeds the limit
v_cndmask_b32 v12, v12, v[vgprValuC+27], s[54:55]  // 
v_cvt_pk_fp8_f32  v27, v12, v12                    // convert f32 accumulated values to fp8
ds_write_b8 v7, v27, offset:131                    // storeRemap lw
v_cvt_f32_fp8 v12, v29 src0_sel:BYTE_0   // convert fp8 in lo_byte[0] to f32
_v_mac_f32 v[vgprValuC+30], v12, s[sgprBeta]       // finalSum = sum*alpha + C*beta
v_cmp_class_f32 s[54:55], v[vgprValuC+30], v16     // check NaN and +/-INF
v_med3_f32 v12, v[vgprValuC+30], v14, v15          // Clipping f32 value if exceeds the limit
v_cndmask_b32 v12, v12, v[vgprValuC+30], s[54:55]  // 
v_cvt_pk_fp8_f32  v30, v12, v12                    // convert f32 accumulated values to fp8
ds_write_b8 v7, v30, offset:136                    // storeRemap lw
v_cvt_f32_fp8 v12, v32 src0_sel:BYTE_0   // convert fp8 in lo_byte[0] to f32
_v_mac_f32 v[vgprValuC+33], v12, s[sgprBeta]       // finalSum = sum*alpha + C*beta
v_cmp_class_f32 s[54:55], v[vgprValuC+33], v16     // check NaN and +/-INF
v_med3_f32 v12, v[vgprValuC+33], v14, v15          // Clipping f32 value if exceeds the limit
v_cndmask_b32 v12, v12, v[vgprValuC+33], s[54:55]  // 
v_cvt_pk_fp8_f32  v33, v12, v12                    // convert f32 accumulated values to fp8
ds_write_b8 v7, v33, offset:137                    // storeRemap lw
v_cvt_f32_fp8 v12, v35 src0_sel:BYTE_0   // convert fp8 in lo_byte[0] to f32
_v_mac_f32 v[vgprValuC+36], v12, s[sgprBeta]       // finalSum = sum*alpha + C*beta
v_cmp_class_f32 s[54:55], v[vgprValuC+36], v16     // check NaN and +/-INF
v_med3_f32 v12, v[vgprValuC+36], v14, v15          // Clipping f32 value if exceeds the limit
v_cndmask_b32 v12, v12, v[vgprValuC+36], s[54:55]  // 
v_cvt_pk_fp8_f32  v36, v12, v12                    // convert f32 accumulated values to fp8
ds_write_b8 v7, v36, offset:138                    // storeRemap lw
v_cvt_f32_fp8 v12, v38 src0_sel:BYTE_0   // convert fp8 in lo_byte[0] to f32
_v_mac_f32 v[vgprValuC+39], v12, s[sgprBeta]       // finalSum = sum*alpha + C*beta
v_cmp_class_f32 s[54:55], v[vgprValuC+39], v16     // check NaN and +/-INF
v_med3_f32 v12, v[vgprValuC+39], v14, v15          // Clipping f32 value if exceeds the limit
v_cndmask_b32 v12, v12, v[vgprValuC+39], s[54:55]  // 
v_cvt_pk_fp8_f32  v39, v12, v12                    // convert f32 accumulated values to fp8
ds_write_b8 v7, v39, offset:139                    // storeRemap lw
s_nop 0                                            // 1 wait state required when next inst writes vgprs held by previous dwordx4 store inst
/* optSingleColVgpr=0 optSharedColVgpr=0 optSGPRUsage=BufferLoad_Edge_Mask optSrdIncForRow=1 */

/******************************************/
/* Global Write Alpha Beta Edge Batch #31 (d1,d0,vc1,vc0) = */
/*    (7,6,0,0:vw1); (7,6,0,1:vw1); (7,6,0,2:vw1); (7,6,0,3:vw1); (7,7,0,0:vw1); (7,7,0,1:vw1); (7,7,0,2:vw1); (7,7,0,3:vw1) */
/******************************************/

/* calc coords, apply mask, and issue loads (if necessary) */
/* (d1,vc1,d0,vc0)=(7,0,6,0) */
s_mov_b32 s54, 144                                 // coordOffset0 d0=6 vc0=0
_v_add_co_u32 v10, vcc, v0, s54                    // coord0.2: coord0 += d0*sg0*VW + vc0
v_cmp_lt_u32 s[54:55], v10, s[sgprSizeI]           // coord0 < size0
v_cmp_lt_u32 s[58:59], v1, s[sgprSizeJ]            // coord1 < size1
s_and_b64 s[58:59], s[54:55], s[58:59]             // in0 && in1
_v_add_lshl_u32 v9, v2, v10, 0x0                   // scaleToBpe: accumulate d0 lower and *= bpe into Cin addr
v_cndmask_b32 v9, -1, v9, s[58:59]                 // LDC clip if OOB. offset
buffer_load_ubyte v17, v9, s[sgprSrdC:sgprSrdC+3], 0, offen offset:0 // load C for beta calc
_v_add_lshl_u32 v9, v3, v10, 0x0                   // scaleToBpe: accumulate d0 lower and *= bpe into Cin addr
v_cndmask_b32 v9, -1, v9, s[58:59]                 // LDD clip if OOB. offset
/* (d1,vc1,d0,vc0)=(7,0,6,1) */
s_mov_b32 s54, 145                                 // coordOffset0 d0=6 vc0=1
_v_add_co_u32 v10, vcc, v0, s54                    // coord0.2: coord0 += d0*sg0*VW + vc0
v_cmp_lt_u32 s[54:55], v10, s[sgprSizeI]           // coord0 < size0
v_cmp_lt_u32 s[58:59], v1, s[sgprSizeJ]            // coord1 < size1
s_and_b64 s[58:59], s[54:55], s[58:59]             // in0 && in1
_v_add_lshl_u32 v19, v2, v10, 0x0                  // scaleToBpe: accumulate d0 lower and *= bpe into Cin addr
v_cndmask_b32 v19, -1, v19, s[58:59]               // LDC clip if OOB. offset
buffer_load_ubyte v20, v19, s[sgprSrdC:sgprSrdC+3], 0, offen offset:0 // load C for beta calc
_v_add_lshl_u32 v19, v3, v10, 0x0                  // scaleToBpe: accumulate d0 lower and *= bpe into Cin addr
v_cndmask_b32 v19, -1, v19, s[58:59]               // LDD clip if OOB. offset
/* (d1,vc1,d0,vc0)=(7,0,6,2) */
s_mov_b32 s54, 146                                 // coordOffset0 d0=6 vc0=2
_v_add_co_u32 v10, vcc, v0, s54                    // coord0.2: coord0 += d0*sg0*VW + vc0
v_cmp_lt_u32 s[54:55], v10, s[sgprSizeI]           // coord0 < size0
v_cmp_lt_u32 s[58:59], v1, s[sgprSizeJ]            // coord1 < size1
s_and_b64 s[58:59], s[54:55], s[58:59]             // in0 && in1
_v_add_lshl_u32 v22, v2, v10, 0x0                  // scaleToBpe: accumulate d0 lower and *= bpe into Cin addr
v_cndmask_b32 v22, -1, v22, s[58:59]               // LDC clip if OOB. offset
buffer_load_ubyte v23, v22, s[sgprSrdC:sgprSrdC+3], 0, offen offset:0 // load C for beta calc
_v_add_lshl_u32 v22, v3, v10, 0x0                  // scaleToBpe: accumulate d0 lower and *= bpe into Cin addr
v_cndmask_b32 v22, -1, v22, s[58:59]               // LDD clip if OOB. offset
	;; [unrolled: 11-line block ×7, first 2 shown]
v_accvgpr_read_b32 v[vgprValuC+18], acc248 // copy acc to vreg[248]
v_accvgpr_read_b32 v[vgprValuC+21], acc249 // copy acc to vreg[249]
v_accvgpr_read_b32 v[vgprValuC+24], acc250 // copy acc to vreg[250]
v_accvgpr_read_b32 v[vgprValuC+27], acc251 // copy acc to vreg[251]
v_accvgpr_read_b32 v[vgprValuC+30], acc252 // copy acc to vreg[252]
v_accvgpr_read_b32 v[vgprValuC+33], acc253 // copy acc to vreg[253]
v_accvgpr_read_b32 v[vgprValuC+36], acc254 // copy acc to vreg[254]
v_accvgpr_read_b32 v[vgprValuC+39], acc255 // copy acc to vreg[255]
s_nop 1                                            // 2 wait states required before reading vgpr

/* rC *= alpha batchElements=[(7, 6, 0, 0), (7, 6, 0, 1), (7, 6, 0, 2), (7, 6, 0, 3), (7, 7, 0, 0), (7, 7, 0, 1), (7, 7, 0, 2), (7, 7, 0, 3)] */
v_mul_f32 v[vgprValuC+18], s[sgprAlpha], v[vgprValuC+18] // *= alpha
v_mul_f32 v[vgprValuC+21], s[sgprAlpha], v[vgprValuC+21] // *= alpha
	;; [unrolled: 1-line block ×8, first 2 shown]
s_waitcnt vmcnt(0)                                 // wait C

/* apply mask, calc new C and issue writes */
v_mov_b32 v16, 0x207                               // flag for Nan and +/- inf
v_mov_b32 v14, 0x43700000                          // save 240.0f as max for clipping
v_mov_b32 v15, 0xC3700000                          // save -240.0f as min for clipping
v_cvt_f32_fp8 v12, v17 src0_sel:BYTE_0   // convert fp8 in lo_byte[0] to f32
_v_mac_f32 v[vgprValuC+18], v12, s[sgprBeta]       // finalSum = sum*alpha + C*beta
v_cmp_class_f32 s[54:55], v[vgprValuC+18], v16     // check NaN and +/-INF
v_med3_f32 v12, v[vgprValuC+18], v14, v15          // Clipping f32 value if exceeds the limit
v_cndmask_b32 v12, v12, v[vgprValuC+18], s[54:55]  // 
v_cvt_pk_fp8_f32  v18, v12, v12                    // convert f32 accumulated values to fp8
ds_write_b8 v7, v18, offset:144                    // storeRemap lw
v_cvt_f32_fp8 v12, v20 src0_sel:BYTE_0   // convert fp8 in lo_byte[0] to f32
_v_mac_f32 v[vgprValuC+21], v12, s[sgprBeta]       // finalSum = sum*alpha + C*beta
v_cmp_class_f32 s[54:55], v[vgprValuC+21], v16     // check NaN and +/-INF
v_med3_f32 v12, v[vgprValuC+21], v14, v15          // Clipping f32 value if exceeds the limit
v_cndmask_b32 v12, v12, v[vgprValuC+21], s[54:55]  // 
v_cvt_pk_fp8_f32  v21, v12, v12                    // convert f32 accumulated values to fp8
ds_write_b8 v7, v21, offset:145                    // storeRemap lw
	;; [unrolled: 7-line block ×8, first 2 shown]

/* Handle local read and global write */
s_waitcnt lgkmcnt(0)                               // wait for LDS write
s_barrier //wait all lds write finished

_ds_load_b128 v[20:23], v8, offset:0               // storeRemap lr
_ds_load_b128 v[24:27], v8, offset:1088            // storeRemap lr

s_waitcnt lgkmcnt(1)                               // wait for LDS read
_v_add_u32 v11, v5, 0                              // coord1 += nColPerLoad
_v_add_u32 v10, v4, 0                              // coord0 += element index of load vector
_v_add_u32 v9, v6, 0                               // offset coord1 += nColPerLoad
v_cmp_lt_u32 s[54:55], v10, s[sgprSizeI]           // coord0 < size0
v_cmp_lt_u32 s[56:57], v11, s[sgprSizeJ]           // coord1 < size1
s_and_b64 s[56:57], s[54:55], s[56:57]             // in0 && in1
v_mul_lo_u32 v9, v9, s[sgprStrideD1J]              // coord1 element offset =  coord1 * StrideD
_v_add_lshl_u32 v9, v9, v10, 0x0                   // scale to BPE
v_cndmask_b32 v9, -1, v9, s[56:57]                 // clip if OOB. offset
buffer_store_byte v20, v9, s[sgprSrdD:sgprSrdD+3], 0, offen, offset:0 // store D
_v_add_u32 v11, v5, 0                              // coord1 += nColPerLoad
_v_add_u32 v10, v4, 1                              // coord0 += element index of load vector
_v_add_u32 v9, v6, 0                               // offset coord1 += nColPerLoad
v_cmp_lt_u32 s[54:55], v10, s[sgprSizeI]           // coord0 < size0
v_cmp_lt_u32 s[56:57], v11, s[sgprSizeJ]           // coord1 < size1
s_and_b64 s[56:57], s[54:55], s[56:57]             // in0 && in1
v_mul_lo_u32 v9, v9, s[sgprStrideD1J]              // coord1 element offset =  coord1 * StrideD
_v_add_lshl_u32 v9, v9, v10, 0x0                   // scale to BPE
v_cndmask_b32 v9, -1, v9, s[56:57]                 // clip if OOB. offset
v_lshrrev_b32 v17, 8, v20                          // vGWTmp = src >> 8
buffer_store_byte v17, v9, s[sgprSrdD:sgprSrdD+3], 0, offen, offset:0 // store D
_v_add_u32 v11, v5, 0                              // coord1 += nColPerLoad
_v_add_u32 v10, v4, 2                              // coord0 += element index of load vector
_v_add_u32 v9, v6, 0                               // offset coord1 += nColPerLoad
v_cmp_lt_u32 s[54:55], v10, s[sgprSizeI]           // coord0 < size0
v_cmp_lt_u32 s[56:57], v11, s[sgprSizeJ]           // coord1 < size1
s_and_b64 s[56:57], s[54:55], s[56:57]             // in0 && in1
v_mul_lo_u32 v9, v9, s[sgprStrideD1J]              // coord1 element offset =  coord1 * StrideD
_v_add_lshl_u32 v9, v9, v10, 0x0                   // scale to BPE
v_cndmask_b32 v9, -1, v9, s[56:57]                 // clip if OOB. offset
buffer_store_byte_d16_hi v20, v9, s[sgprSrdD:sgprSrdD+3], 0, offen, offset:0 // store D
_v_add_u32 v11, v5, 0                              // coord1 += nColPerLoad
_v_add_u32 v10, v4, 3                              // coord0 += element index of load vector
_v_add_u32 v9, v6, 0                               // offset coord1 += nColPerLoad
v_cmp_lt_u32 s[54:55], v10, s[sgprSizeI]           // coord0 < size0
v_cmp_lt_u32 s[56:57], v11, s[sgprSizeJ]           // coord1 < size1
s_and_b64 s[56:57], s[54:55], s[56:57]             // in0 && in1
v_mul_lo_u32 v9, v9, s[sgprStrideD1J]              // coord1 element offset =  coord1 * StrideD
_v_add_lshl_u32 v9, v9, v10, 0x0                   // scale to BPE
v_cndmask_b32 v9, -1, v9, s[56:57]                 // clip if OOB. offset
v_lshrrev_b32 v17, 8, v20                          // vGWTmp = src >> 8
buffer_store_byte_d16_hi v17, v9, s[sgprSrdD:sgprSrdD+3], 0, offen, offset:0 // store D
_v_add_u32 v11, v5, 0                              // coord1 += nColPerLoad
_v_add_u32 v10, v4, 4                              // coord0 += element index of load vector
_v_add_u32 v9, v6, 0                               // offset coord1 += nColPerLoad
v_cmp_lt_u32 s[54:55], v10, s[sgprSizeI]           // coord0 < size0
v_cmp_lt_u32 s[56:57], v11, s[sgprSizeJ]           // coord1 < size1
s_and_b64 s[56:57], s[54:55], s[56:57]             // in0 && in1
v_mul_lo_u32 v9, v9, s[sgprStrideD1J]              // coord1 element offset =  coord1 * StrideD
_v_add_lshl_u32 v9, v9, v10, 0x0                   // scale to BPE
v_cndmask_b32 v9, -1, v9, s[56:57]                 // clip if OOB. offset
buffer_store_byte v21, v9, s[sgprSrdD:sgprSrdD+3], 0, offen, offset:0 // store D
_v_add_u32 v11, v5, 0                              // coord1 += nColPerLoad
_v_add_u32 v10, v4, 5                              // coord0 += element index of load vector
_v_add_u32 v9, v6, 0                               // offset coord1 += nColPerLoad
v_cmp_lt_u32 s[54:55], v10, s[sgprSizeI]           // coord0 < size0
v_cmp_lt_u32 s[56:57], v11, s[sgprSizeJ]           // coord1 < size1
s_and_b64 s[56:57], s[54:55], s[56:57]             // in0 && in1
v_mul_lo_u32 v9, v9, s[sgprStrideD1J]              // coord1 element offset =  coord1 * StrideD
_v_add_lshl_u32 v9, v9, v10, 0x0                   // scale to BPE
v_cndmask_b32 v9, -1, v9, s[56:57]                 // clip if OOB. offset
v_lshrrev_b32 v17, 8, v21                          // vGWTmp = src >> 8
buffer_store_byte v17, v9, s[sgprSrdD:sgprSrdD+3], 0, offen, offset:0 // store D
_v_add_u32 v11, v5, 0                              // coord1 += nColPerLoad
_v_add_u32 v10, v4, 6                              // coord0 += element index of load vector
_v_add_u32 v9, v6, 0                               // offset coord1 += nColPerLoad
v_cmp_lt_u32 s[54:55], v10, s[sgprSizeI]           // coord0 < size0
v_cmp_lt_u32 s[56:57], v11, s[sgprSizeJ]           // coord1 < size1
s_and_b64 s[56:57], s[54:55], s[56:57]             // in0 && in1
v_mul_lo_u32 v9, v9, s[sgprStrideD1J]              // coord1 element offset =  coord1 * StrideD
_v_add_lshl_u32 v9, v9, v10, 0x0                   // scale to BPE
v_cndmask_b32 v9, -1, v9, s[56:57]                 // clip if OOB. offset
buffer_store_byte_d16_hi v21, v9, s[sgprSrdD:sgprSrdD+3], 0, offen, offset:0 // store D
_v_add_u32 v11, v5, 0                              // coord1 += nColPerLoad
_v_add_u32 v10, v4, 7                              // coord0 += element index of load vector
_v_add_u32 v9, v6, 0                               // offset coord1 += nColPerLoad
v_cmp_lt_u32 s[54:55], v10, s[sgprSizeI]           // coord0 < size0
v_cmp_lt_u32 s[56:57], v11, s[sgprSizeJ]           // coord1 < size1
s_and_b64 s[56:57], s[54:55], s[56:57]             // in0 && in1
v_mul_lo_u32 v9, v9, s[sgprStrideD1J]              // coord1 element offset =  coord1 * StrideD
_v_add_lshl_u32 v9, v9, v10, 0x0                   // scale to BPE
v_cndmask_b32 v9, -1, v9, s[56:57]                 // clip if OOB. offset
v_lshrrev_b32 v17, 8, v21                          // vGWTmp = src >> 8
buffer_store_byte_d16_hi v17, v9, s[sgprSrdD:sgprSrdD+3], 0, offen, offset:0 // store D
_v_add_u32 v11, v5, 0                              // coord1 += nColPerLoad
_v_add_u32 v10, v4, 8                              // coord0 += element index of load vector
_v_add_u32 v9, v6, 0                               // offset coord1 += nColPerLoad
v_cmp_lt_u32 s[54:55], v10, s[sgprSizeI]           // coord0 < size0
v_cmp_lt_u32 s[56:57], v11, s[sgprSizeJ]           // coord1 < size1
s_and_b64 s[56:57], s[54:55], s[56:57]             // in0 && in1
v_mul_lo_u32 v9, v9, s[sgprStrideD1J]              // coord1 element offset =  coord1 * StrideD
_v_add_lshl_u32 v9, v9, v10, 0x0                   // scale to BPE
v_cndmask_b32 v9, -1, v9, s[56:57]                 // clip if OOB. offset
buffer_store_byte v22, v9, s[sgprSrdD:sgprSrdD+3], 0, offen, offset:0 // store D
_v_add_u32 v11, v5, 0                              // coord1 += nColPerLoad
_v_add_u32 v10, v4, 9                              // coord0 += element index of load vector
_v_add_u32 v9, v6, 0                               // offset coord1 += nColPerLoad
v_cmp_lt_u32 s[54:55], v10, s[sgprSizeI]           // coord0 < size0
v_cmp_lt_u32 s[56:57], v11, s[sgprSizeJ]           // coord1 < size1
s_and_b64 s[56:57], s[54:55], s[56:57]             // in0 && in1
v_mul_lo_u32 v9, v9, s[sgprStrideD1J]              // coord1 element offset =  coord1 * StrideD
_v_add_lshl_u32 v9, v9, v10, 0x0                   // scale to BPE
v_cndmask_b32 v9, -1, v9, s[56:57]                 // clip if OOB. offset
v_lshrrev_b32 v17, 8, v22                          // vGWTmp = src >> 8
buffer_store_byte v17, v9, s[sgprSrdD:sgprSrdD+3], 0, offen, offset:0 // store D
_v_add_u32 v11, v5, 0                              // coord1 += nColPerLoad
_v_add_u32 v10, v4, 10                             // coord0 += element index of load vector
_v_add_u32 v9, v6, 0                               // offset coord1 += nColPerLoad
v_cmp_lt_u32 s[54:55], v10, s[sgprSizeI]           // coord0 < size0
v_cmp_lt_u32 s[56:57], v11, s[sgprSizeJ]           // coord1 < size1
s_and_b64 s[56:57], s[54:55], s[56:57]             // in0 && in1
v_mul_lo_u32 v9, v9, s[sgprStrideD1J]              // coord1 element offset =  coord1 * StrideD
_v_add_lshl_u32 v9, v9, v10, 0x0                   // scale to BPE
v_cndmask_b32 v9, -1, v9, s[56:57]                 // clip if OOB. offset
buffer_store_byte_d16_hi v22, v9, s[sgprSrdD:sgprSrdD+3], 0, offen, offset:0 // store D
_v_add_u32 v11, v5, 0                              // coord1 += nColPerLoad
_v_add_u32 v10, v4, 11                             // coord0 += element index of load vector
_v_add_u32 v9, v6, 0                               // offset coord1 += nColPerLoad
v_cmp_lt_u32 s[54:55], v10, s[sgprSizeI]           // coord0 < size0
v_cmp_lt_u32 s[56:57], v11, s[sgprSizeJ]           // coord1 < size1
s_and_b64 s[56:57], s[54:55], s[56:57]             // in0 && in1
v_mul_lo_u32 v9, v9, s[sgprStrideD1J]              // coord1 element offset =  coord1 * StrideD
_v_add_lshl_u32 v9, v9, v10, 0x0                   // scale to BPE
v_cndmask_b32 v9, -1, v9, s[56:57]                 // clip if OOB. offset
v_lshrrev_b32 v17, 8, v22                          // vGWTmp = src >> 8
buffer_store_byte_d16_hi v17, v9, s[sgprSrdD:sgprSrdD+3], 0, offen, offset:0 // store D
_v_add_u32 v11, v5, 0                              // coord1 += nColPerLoad
_v_add_u32 v10, v4, 12                             // coord0 += element index of load vector
_v_add_u32 v9, v6, 0                               // offset coord1 += nColPerLoad
v_cmp_lt_u32 s[54:55], v10, s[sgprSizeI]           // coord0 < size0
v_cmp_lt_u32 s[56:57], v11, s[sgprSizeJ]           // coord1 < size1
s_and_b64 s[56:57], s[54:55], s[56:57]             // in0 && in1
v_mul_lo_u32 v9, v9, s[sgprStrideD1J]              // coord1 element offset =  coord1 * StrideD
_v_add_lshl_u32 v9, v9, v10, 0x0                   // scale to BPE
v_cndmask_b32 v9, -1, v9, s[56:57]                 // clip if OOB. offset
buffer_store_byte v23, v9, s[sgprSrdD:sgprSrdD+3], 0, offen, offset:0 // store D
_v_add_u32 v11, v5, 0                              // coord1 += nColPerLoad
_v_add_u32 v10, v4, 13                             // coord0 += element index of load vector
_v_add_u32 v9, v6, 0                               // offset coord1 += nColPerLoad
v_cmp_lt_u32 s[54:55], v10, s[sgprSizeI]           // coord0 < size0
v_cmp_lt_u32 s[56:57], v11, s[sgprSizeJ]           // coord1 < size1
s_and_b64 s[56:57], s[54:55], s[56:57]             // in0 && in1
v_mul_lo_u32 v9, v9, s[sgprStrideD1J]              // coord1 element offset =  coord1 * StrideD
_v_add_lshl_u32 v9, v9, v10, 0x0                   // scale to BPE
v_cndmask_b32 v9, -1, v9, s[56:57]                 // clip if OOB. offset
v_lshrrev_b32 v17, 8, v23                          // vGWTmp = src >> 8
buffer_store_byte v17, v9, s[sgprSrdD:sgprSrdD+3], 0, offen, offset:0 // store D
_v_add_u32 v11, v5, 0                              // coord1 += nColPerLoad
_v_add_u32 v10, v4, 14                             // coord0 += element index of load vector
_v_add_u32 v9, v6, 0                               // offset coord1 += nColPerLoad
v_cmp_lt_u32 s[54:55], v10, s[sgprSizeI]           // coord0 < size0
v_cmp_lt_u32 s[56:57], v11, s[sgprSizeJ]           // coord1 < size1
s_and_b64 s[56:57], s[54:55], s[56:57]             // in0 && in1
v_mul_lo_u32 v9, v9, s[sgprStrideD1J]              // coord1 element offset =  coord1 * StrideD
_v_add_lshl_u32 v9, v9, v10, 0x0                   // scale to BPE
v_cndmask_b32 v9, -1, v9, s[56:57]                 // clip if OOB. offset
buffer_store_byte_d16_hi v23, v9, s[sgprSrdD:sgprSrdD+3], 0, offen, offset:0 // store D
_v_add_u32 v11, v5, 0                              // coord1 += nColPerLoad
_v_add_u32 v10, v4, 15                             // coord0 += element index of load vector
_v_add_u32 v9, v6, 0                               // offset coord1 += nColPerLoad
v_cmp_lt_u32 s[54:55], v10, s[sgprSizeI]           // coord0 < size0
v_cmp_lt_u32 s[56:57], v11, s[sgprSizeJ]           // coord1 < size1
s_and_b64 s[56:57], s[54:55], s[56:57]             // in0 && in1
v_mul_lo_u32 v9, v9, s[sgprStrideD1J]              // coord1 element offset =  coord1 * StrideD
_v_add_lshl_u32 v9, v9, v10, 0x0                   // scale to BPE
v_cndmask_b32 v9, -1, v9, s[56:57]                 // clip if OOB. offset
v_lshrrev_b32 v17, 8, v23                          // vGWTmp = src >> 8
buffer_store_byte_d16_hi v17, v9, s[sgprSrdD:sgprSrdD+3], 0, offen, offset:0 // store D
s_waitcnt lgkmcnt(0)                               // wait for LDS read
_v_add_u32 v11, v5, 4                              // coord1 += nColPerLoad
_v_add_u32 v10, v4, 0                              // coord0 += element index of load vector
_v_add_u32 v9, v6, 4                               // offset coord1 += nColPerLoad
v_cmp_lt_u32 s[54:55], v10, s[sgprSizeI]           // coord0 < size0
v_cmp_lt_u32 s[56:57], v11, s[sgprSizeJ]           // coord1 < size1
s_and_b64 s[56:57], s[54:55], s[56:57]             // in0 && in1
v_mul_lo_u32 v9, v9, s[sgprStrideD1J]              // coord1 element offset =  coord1 * StrideD
_v_add_lshl_u32 v9, v9, v10, 0x0                   // scale to BPE
v_cndmask_b32 v9, -1, v9, s[56:57]                 // clip if OOB. offset
buffer_store_byte v24, v9, s[sgprSrdD:sgprSrdD+3], 0, offen, offset:0 // store D
_v_add_u32 v11, v5, 4                              // coord1 += nColPerLoad
_v_add_u32 v10, v4, 1                              // coord0 += element index of load vector
_v_add_u32 v9, v6, 4                               // offset coord1 += nColPerLoad
v_cmp_lt_u32 s[54:55], v10, s[sgprSizeI]           // coord0 < size0
v_cmp_lt_u32 s[56:57], v11, s[sgprSizeJ]           // coord1 < size1
s_and_b64 s[56:57], s[54:55], s[56:57]             // in0 && in1
v_mul_lo_u32 v9, v9, s[sgprStrideD1J]              // coord1 element offset =  coord1 * StrideD
_v_add_lshl_u32 v9, v9, v10, 0x0                   // scale to BPE
v_cndmask_b32 v9, -1, v9, s[56:57]                 // clip if OOB. offset
v_lshrrev_b32 v17, 8, v24                          // vGWTmp = src >> 8
buffer_store_byte v17, v9, s[sgprSrdD:sgprSrdD+3], 0, offen, offset:0 // store D
_v_add_u32 v11, v5, 4                              // coord1 += nColPerLoad
_v_add_u32 v10, v4, 2                              // coord0 += element index of load vector
_v_add_u32 v9, v6, 4                               // offset coord1 += nColPerLoad
v_cmp_lt_u32 s[54:55], v10, s[sgprSizeI]           // coord0 < size0
v_cmp_lt_u32 s[56:57], v11, s[sgprSizeJ]           // coord1 < size1
s_and_b64 s[56:57], s[54:55], s[56:57]             // in0 && in1
v_mul_lo_u32 v9, v9, s[sgprStrideD1J]              // coord1 element offset =  coord1 * StrideD
_v_add_lshl_u32 v9, v9, v10, 0x0                   // scale to BPE
v_cndmask_b32 v9, -1, v9, s[56:57]                 // clip if OOB. offset
buffer_store_byte_d16_hi v24, v9, s[sgprSrdD:sgprSrdD+3], 0, offen, offset:0 // store D
_v_add_u32 v11, v5, 4                              // coord1 += nColPerLoad
_v_add_u32 v10, v4, 3                              // coord0 += element index of load vector
_v_add_u32 v9, v6, 4                               // offset coord1 += nColPerLoad
v_cmp_lt_u32 s[54:55], v10, s[sgprSizeI]           // coord0 < size0
v_cmp_lt_u32 s[56:57], v11, s[sgprSizeJ]           // coord1 < size1
s_and_b64 s[56:57], s[54:55], s[56:57]             // in0 && in1
v_mul_lo_u32 v9, v9, s[sgprStrideD1J]              // coord1 element offset =  coord1 * StrideD
_v_add_lshl_u32 v9, v9, v10, 0x0                   // scale to BPE
v_cndmask_b32 v9, -1, v9, s[56:57]                 // clip if OOB. offset
v_lshrrev_b32 v17, 8, v24                          // vGWTmp = src >> 8
buffer_store_byte_d16_hi v17, v9, s[sgprSrdD:sgprSrdD+3], 0, offen, offset:0 // store D
_v_add_u32 v11, v5, 4                              // coord1 += nColPerLoad
_v_add_u32 v10, v4, 4                              // coord0 += element index of load vector
_v_add_u32 v9, v6, 4                               // offset coord1 += nColPerLoad
v_cmp_lt_u32 s[54:55], v10, s[sgprSizeI]           // coord0 < size0
v_cmp_lt_u32 s[56:57], v11, s[sgprSizeJ]           // coord1 < size1
s_and_b64 s[56:57], s[54:55], s[56:57]             // in0 && in1
v_mul_lo_u32 v9, v9, s[sgprStrideD1J]              // coord1 element offset =  coord1 * StrideD
_v_add_lshl_u32 v9, v9, v10, 0x0                   // scale to BPE
v_cndmask_b32 v9, -1, v9, s[56:57]                 // clip if OOB. offset
buffer_store_byte v25, v9, s[sgprSrdD:sgprSrdD+3], 0, offen, offset:0 // store D
_v_add_u32 v11, v5, 4                              // coord1 += nColPerLoad
_v_add_u32 v10, v4, 5                              // coord0 += element index of load vector
_v_add_u32 v9, v6, 4                               // offset coord1 += nColPerLoad
v_cmp_lt_u32 s[54:55], v10, s[sgprSizeI]           // coord0 < size0
v_cmp_lt_u32 s[56:57], v11, s[sgprSizeJ]           // coord1 < size1
s_and_b64 s[56:57], s[54:55], s[56:57]             // in0 && in1
v_mul_lo_u32 v9, v9, s[sgprStrideD1J]              // coord1 element offset =  coord1 * StrideD
_v_add_lshl_u32 v9, v9, v10, 0x0                   // scale to BPE
v_cndmask_b32 v9, -1, v9, s[56:57]                 // clip if OOB. offset
v_lshrrev_b32 v17, 8, v25                          // vGWTmp = src >> 8
buffer_store_byte v17, v9, s[sgprSrdD:sgprSrdD+3], 0, offen, offset:0 // store D
_v_add_u32 v11, v5, 4                              // coord1 += nColPerLoad
_v_add_u32 v10, v4, 6                              // coord0 += element index of load vector
_v_add_u32 v9, v6, 4                               // offset coord1 += nColPerLoad
v_cmp_lt_u32 s[54:55], v10, s[sgprSizeI]           // coord0 < size0
v_cmp_lt_u32 s[56:57], v11, s[sgprSizeJ]           // coord1 < size1
s_and_b64 s[56:57], s[54:55], s[56:57]             // in0 && in1
v_mul_lo_u32 v9, v9, s[sgprStrideD1J]              // coord1 element offset =  coord1 * StrideD
_v_add_lshl_u32 v9, v9, v10, 0x0                   // scale to BPE
v_cndmask_b32 v9, -1, v9, s[56:57]                 // clip if OOB. offset
buffer_store_byte_d16_hi v25, v9, s[sgprSrdD:sgprSrdD+3], 0, offen, offset:0 // store D
_v_add_u32 v11, v5, 4                              // coord1 += nColPerLoad
_v_add_u32 v10, v4, 7                              // coord0 += element index of load vector
_v_add_u32 v9, v6, 4                               // offset coord1 += nColPerLoad
v_cmp_lt_u32 s[54:55], v10, s[sgprSizeI]           // coord0 < size0
v_cmp_lt_u32 s[56:57], v11, s[sgprSizeJ]           // coord1 < size1
s_and_b64 s[56:57], s[54:55], s[56:57]             // in0 && in1
v_mul_lo_u32 v9, v9, s[sgprStrideD1J]              // coord1 element offset =  coord1 * StrideD
_v_add_lshl_u32 v9, v9, v10, 0x0                   // scale to BPE
v_cndmask_b32 v9, -1, v9, s[56:57]                 // clip if OOB. offset
v_lshrrev_b32 v17, 8, v25                          // vGWTmp = src >> 8
buffer_store_byte_d16_hi v17, v9, s[sgprSrdD:sgprSrdD+3], 0, offen, offset:0 // store D
_v_add_u32 v11, v5, 4                              // coord1 += nColPerLoad
_v_add_u32 v10, v4, 8                              // coord0 += element index of load vector
_v_add_u32 v9, v6, 4                               // offset coord1 += nColPerLoad
v_cmp_lt_u32 s[54:55], v10, s[sgprSizeI]           // coord0 < size0
v_cmp_lt_u32 s[56:57], v11, s[sgprSizeJ]           // coord1 < size1
s_and_b64 s[56:57], s[54:55], s[56:57]             // in0 && in1
v_mul_lo_u32 v9, v9, s[sgprStrideD1J]              // coord1 element offset =  coord1 * StrideD
_v_add_lshl_u32 v9, v9, v10, 0x0                   // scale to BPE
v_cndmask_b32 v9, -1, v9, s[56:57]                 // clip if OOB. offset
buffer_store_byte v26, v9, s[sgprSrdD:sgprSrdD+3], 0, offen, offset:0 // store D
_v_add_u32 v11, v5, 4                              // coord1 += nColPerLoad
_v_add_u32 v10, v4, 9                              // coord0 += element index of load vector
_v_add_u32 v9, v6, 4                               // offset coord1 += nColPerLoad
v_cmp_lt_u32 s[54:55], v10, s[sgprSizeI]           // coord0 < size0
v_cmp_lt_u32 s[56:57], v11, s[sgprSizeJ]           // coord1 < size1
s_and_b64 s[56:57], s[54:55], s[56:57]             // in0 && in1
v_mul_lo_u32 v9, v9, s[sgprStrideD1J]              // coord1 element offset =  coord1 * StrideD
_v_add_lshl_u32 v9, v9, v10, 0x0                   // scale to BPE
v_cndmask_b32 v9, -1, v9, s[56:57]                 // clip if OOB. offset
v_lshrrev_b32 v17, 8, v26                          // vGWTmp = src >> 8
buffer_store_byte v17, v9, s[sgprSrdD:sgprSrdD+3], 0, offen, offset:0 // store D
_v_add_u32 v11, v5, 4                              // coord1 += nColPerLoad
_v_add_u32 v10, v4, 10                             // coord0 += element index of load vector
_v_add_u32 v9, v6, 4                               // offset coord1 += nColPerLoad
v_cmp_lt_u32 s[54:55], v10, s[sgprSizeI]           // coord0 < size0
v_cmp_lt_u32 s[56:57], v11, s[sgprSizeJ]           // coord1 < size1
s_and_b64 s[56:57], s[54:55], s[56:57]             // in0 && in1
v_mul_lo_u32 v9, v9, s[sgprStrideD1J]              // coord1 element offset =  coord1 * StrideD
_v_add_lshl_u32 v9, v9, v10, 0x0                   // scale to BPE
v_cndmask_b32 v9, -1, v9, s[56:57]                 // clip if OOB. offset
buffer_store_byte_d16_hi v26, v9, s[sgprSrdD:sgprSrdD+3], 0, offen, offset:0 // store D
_v_add_u32 v11, v5, 4                              // coord1 += nColPerLoad
_v_add_u32 v10, v4, 11                             // coord0 += element index of load vector
_v_add_u32 v9, v6, 4                               // offset coord1 += nColPerLoad
v_cmp_lt_u32 s[54:55], v10, s[sgprSizeI]           // coord0 < size0
v_cmp_lt_u32 s[56:57], v11, s[sgprSizeJ]           // coord1 < size1
s_and_b64 s[56:57], s[54:55], s[56:57]             // in0 && in1
v_mul_lo_u32 v9, v9, s[sgprStrideD1J]              // coord1 element offset =  coord1 * StrideD
_v_add_lshl_u32 v9, v9, v10, 0x0                   // scale to BPE
v_cndmask_b32 v9, -1, v9, s[56:57]                 // clip if OOB. offset
v_lshrrev_b32 v17, 8, v26                          // vGWTmp = src >> 8
buffer_store_byte_d16_hi v17, v9, s[sgprSrdD:sgprSrdD+3], 0, offen, offset:0 // store D
_v_add_u32 v11, v5, 4                              // coord1 += nColPerLoad
_v_add_u32 v10, v4, 12                             // coord0 += element index of load vector
_v_add_u32 v9, v6, 4                               // offset coord1 += nColPerLoad
v_cmp_lt_u32 s[54:55], v10, s[sgprSizeI]           // coord0 < size0
v_cmp_lt_u32 s[56:57], v11, s[sgprSizeJ]           // coord1 < size1
s_and_b64 s[56:57], s[54:55], s[56:57]             // in0 && in1
v_mul_lo_u32 v9, v9, s[sgprStrideD1J]              // coord1 element offset =  coord1 * StrideD
_v_add_lshl_u32 v9, v9, v10, 0x0                   // scale to BPE
v_cndmask_b32 v9, -1, v9, s[56:57]                 // clip if OOB. offset
buffer_store_byte v27, v9, s[sgprSrdD:sgprSrdD+3], 0, offen, offset:0 // store D
_v_add_u32 v11, v5, 4                              // coord1 += nColPerLoad
_v_add_u32 v10, v4, 13                             // coord0 += element index of load vector
_v_add_u32 v9, v6, 4                               // offset coord1 += nColPerLoad
v_cmp_lt_u32 s[54:55], v10, s[sgprSizeI]           // coord0 < size0
v_cmp_lt_u32 s[56:57], v11, s[sgprSizeJ]           // coord1 < size1
s_and_b64 s[56:57], s[54:55], s[56:57]             // in0 && in1
v_mul_lo_u32 v9, v9, s[sgprStrideD1J]              // coord1 element offset =  coord1 * StrideD
_v_add_lshl_u32 v9, v9, v10, 0x0                   // scale to BPE
v_cndmask_b32 v9, -1, v9, s[56:57]                 // clip if OOB. offset
v_lshrrev_b32 v17, 8, v27                          // vGWTmp = src >> 8
buffer_store_byte v17, v9, s[sgprSrdD:sgprSrdD+3], 0, offen, offset:0 // store D
_v_add_u32 v11, v5, 4                              // coord1 += nColPerLoad
_v_add_u32 v10, v4, 14                             // coord0 += element index of load vector
_v_add_u32 v9, v6, 4                               // offset coord1 += nColPerLoad
v_cmp_lt_u32 s[54:55], v10, s[sgprSizeI]           // coord0 < size0
v_cmp_lt_u32 s[56:57], v11, s[sgprSizeJ]           // coord1 < size1
s_and_b64 s[56:57], s[54:55], s[56:57]             // in0 && in1
v_mul_lo_u32 v9, v9, s[sgprStrideD1J]              // coord1 element offset =  coord1 * StrideD
_v_add_lshl_u32 v9, v9, v10, 0x0                   // scale to BPE
v_cndmask_b32 v9, -1, v9, s[56:57]                 // clip if OOB. offset
buffer_store_byte_d16_hi v27, v9, s[sgprSrdD:sgprSrdD+3], 0, offen, offset:0 // store D
_v_add_u32 v11, v5, 4                              // coord1 += nColPerLoad
_v_add_u32 v10, v4, 15                             // coord0 += element index of load vector
_v_add_u32 v9, v6, 4                               // offset coord1 += nColPerLoad
v_cmp_lt_u32 s[54:55], v10, s[sgprSizeI]           // coord0 < size0
v_cmp_lt_u32 s[56:57], v11, s[sgprSizeJ]           // coord1 < size1
s_and_b64 s[56:57], s[54:55], s[56:57]             // in0 && in1
v_mul_lo_u32 v9, v9, s[sgprStrideD1J]              // coord1 element offset =  coord1 * StrideD
_v_add_lshl_u32 v9, v9, v10, 0x0                   // scale to BPE
v_cndmask_b32 v9, -1, v9, s[56:57]                 // clip if OOB. offset
v_lshrrev_b32 v17, 8, v27                          // vGWTmp = src >> 8
buffer_store_byte_d16_hi v17, v9, s[sgprSrdD:sgprSrdD+3], 0, offen, offset:0 // store D

s_barrier //wait all lds read finished
s_nop 0                                            // 1 wait state required when next inst writes vgprs held by previous dwordx4 store inst
s_branch label_GW_End_124                          // jump to end
label_GW_End_124:

label_0129:  /// KernelEnd
s_endpgm                                           // Kernel End

